;; amdgpu-corpus repo=ROCm/aiter kind=harvested arch=n/a opt=n/a

/root/src/amdgpu-assembly/repos/ROCm__aiter/hsa/gfx942/fmoe_2stages/fmoe_stage1_bf16_pertokenFp8_doweight_g1u1_16x512_2tg_pf2.co:	file format elf64-amdgpu

Disassembly of section .text:

0000000000002a00 <_ZN5aiter57fmoe_stage1_bf16_pertokenFp8_doweight_g1u1_16x512_2tg_pf2E>:
	s_and_b32 s1, s1, 0xffff                                   // 000000002A00: 8601FF01 0000FFFF
	s_load_dwordx2 s[8:9], s[0:1], 0x0                         // 000000002A08: C0060200 00000000
	s_load_dwordx2 s[20:21], s[0:1], 0x10                      // 000000002A10: C0060500 00000010
	s_load_dwordx2 s[24:25], s[0:1], 0x20                      // 000000002A18: C0060600 00000020
	s_load_dwordx2 s[48:49], s[0:1], 0x30                      // 000000002A20: C0060C00 00000030
	s_load_dwordx2 s[28:29], s[0:1], 0x40                      // 000000002A28: C0060700 00000040
	s_load_dwordx2 s[32:33], s[0:1], 0x50                      // 000000002A30: C0060800 00000050
	s_load_dwordx2 s[36:37], s[0:1], 0x60                      // 000000002A38: C0060900 00000060
	s_load_dwordx2 s[12:13], s[0:1], 0x70                      // 000000002A40: C0060300 00000070
	s_load_dwordx2 s[44:45], s[0:1], 0x80                      // 000000002A48: C0060B00 00000080
	s_mov_b32 s89, 0                                           // 000000002A50: BED90080
	s_load_dword s64, s[0:1], 0x90                             // 000000002A54: C0021000 00000090
	s_load_dword s65, s[0:1], 0xa0                             // 000000002A5C: C0021040 000000A0
	s_load_dword s66, s[0:1], 0xb0                             // 000000002A64: C0021080 000000B0
	s_load_dword s67, s[0:1], 0xc0                             // 000000002A6C: C00210C0 000000C0
	s_load_dword s68, s[0:1], 0xd0                             // 000000002A74: C0021100 000000D0
	s_load_dword s69, s[0:1], 0xe0                             // 000000002A7C: C0021140 000000E0
	s_load_dword s71, s[0:1], 0xf0                             // 000000002A84: C00211C0 000000F0
	s_load_dword s72, s[0:1], 0x100                            // 000000002A8C: C0021200 00000100
	s_load_dword s74, s[0:1], 0x110                            // 000000002A94: C0021280 00000110
	s_load_dword s76, s[0:1], 0x120                            // 000000002A9C: C0021300 00000120
	s_load_dword s56, s[0:1], 0x130                            // 000000002AA4: C0020E00 00000130
	s_load_dword s88, s[0:1], 0x140                            // 000000002AAC: C0021600 00000140
	s_load_dword s89, s[0:1], 0x150                            // 000000002AB4: C0021640 00000150
	s_load_dwordx2 s[40:41], s[0:1], 0x160                     // 000000002ABC: C0060A00 00000160
	v_lshrrev_b32_e32 v1, 10, v0                               // 000000002AC4: 2002008A
	v_lshrrev_b32_e32 v2, 10, v1                               // 000000002AC8: 2004028A
	v_and_b32_e32 v2, 0x3ff, v2                                // 000000002ACC: 260404FF 000003FF
	v_and_b32_e32 v1, 0x3ff, v1                                // 000000002AD4: 260202FF 000003FF
	v_and_b32_e32 v0, 0x3ff, v0                                // 000000002ADC: 260000FF 000003FF
	v_lshrrev_b32_e32 v3, 6, v0                                // 000000002AE4: 20060086
	v_and_b32_e32 v0, 63, v0                                   // 000000002AE8: 260000BF
	s_mov_b32 s2, s2                                           // 000000002AEC: BE820002
	s_mov_b32 s3, s3                                           // 000000002AF0: BE830003
	s_mov_b32 s4, s4                                           // 000000002AF4: BE840004
	v_readfirstlane_b32 s7, v3                                 // 000000002AF8: 7E0E0503
	s_waitcnt lgkmcnt(0)                                       // 000000002AFC: BF8CC07F
	s_and_b32 s49, s49, 0xffff                                 // 000000002B00: 8631FF31 0000FFFF
	s_load_dword s48, s[48:49], 0x0                            // 000000002B08: C0020C18 00000000
	s_and_b32 s45, s45, 0xffff                                 // 000000002B10: 862DFF2D 0000FFFF
	s_and_b32 s9, s9, 0xffff                                   // 000000002B18: 8609FF09 0000FFFF
	s_mul_i32 s60, s66, s68                                    // 000000002B20: 923C4442
	s_mul_i32 s61, s66, 4                                      // 000000002B24: 923D8442
	s_mov_b32 s22, s60                                         // 000000002B28: BE96003C
	s_mov_b32 s26, -16                                         // 000000002B2C: BE9A00D0
	s_mov_b32 s30, s61                                         // 000000002B30: BE9E003D
	s_mov_b32 s14, 64                                          // 000000002B34: BE8E00C0
	s_mov_b32 s38, -16                                         // 000000002B38: BEA600D0
	s_mov_b32 s10, -16                                         // 000000002B3C: BE8A00D0
	s_mov_b32 s34, 0x800                                       // 000000002B40: BEA200FF 00000800
	s_mov_b32 s23, 0x20000                                     // 000000002B48: BE9700FF 00020000
	s_mov_b32 s27, 0x20000                                     // 000000002B50: BE9B00FF 00020000
	s_mov_b32 s31, 0x20000                                     // 000000002B58: BE9F00FF 00020000
	s_mov_b32 s35, 0x20000                                     // 000000002B60: BEA300FF 00020000
	s_mov_b32 s15, 0x20000                                     // 000000002B68: BE8F00FF 00020000
	s_mov_b32 s39, 0x20000                                     // 000000002B70: BEA700FF 00020000
	s_mov_b32 s11, 0x20000                                     // 000000002B78: BE8B00FF 00020000
	s_and_b32 s21, s21, 0xffff                                 // 000000002B80: 8615FF15 0000FFFF
	s_and_b32 s25, s25, 0xffff                                 // 000000002B88: 8619FF19 0000FFFF
	s_and_b32 s29, s29, 0xffff                                 // 000000002B90: 861DFF1D 0000FFFF
	s_and_b32 s33, s33, 0xffff                                 // 000000002B98: 8621FF21 0000FFFF
	s_and_b32 s13, s13, 0xffff                                 // 000000002BA0: 860DFF0D 0000FFFF
	s_and_b32 s37, s37, 0xffff                                 // 000000002BA8: 8625FF25 0000FFFF
	s_or_b32 s21, s21, 0x40000                                 // 000000002BB0: 8715FF15 00040000
	s_or_b32 s25, s25, 0x40000                                 // 000000002BB8: 8719FF19 00040000
	s_or_b32 s29, s29, 0x40000                                 // 000000002BC0: 871DFF1D 00040000
	s_or_b32 s33, s33, 0x40000                                 // 000000002BC8: 8721FF21 00040000
	s_or_b32 s13, s13, 0x40000                                 // 000000002BD0: 870DFF0D 00040000
	s_or_b32 s37, s37, 0x40000                                 // 000000002BD8: 8725FF25 00040000
	s_mov_b32 s42, -16                                         // 000000002BE0: BEAA00D0
	s_mov_b32 s43, 0x20000                                     // 000000002BE4: BEAB00FF 00020000
	s_and_b32 s41, s41, 0xffff                                 // 000000002BEC: 8629FF29 0000FFFF
	s_or_b32 s41, s41, 0x40000                                 // 000000002BF4: 8729FF29 00040000
	v_accvgpr_write_b32 a143, 0                                // 000000002BFC: D3D9408F 18000080
	v_mov_b32_e32 v108, 0                                      // 000000002C04: 7ED80280
	s_waitcnt lgkmcnt(0)                                       // 000000002C08: BF8CC07F
	s_mul_i32 s60, s3, 16                                      // 000000002C0C: 923C9003
	s_cmp_lt_i32 s60, s48                                      // 000000002C10: BF04303C
	s_cbranch_scc0 label_12FB                                  // 000000002C14: BF841272
	s_mov_b32 s80, 0                                           // 000000002C18: BED00080
	s_lshr_b32 s81, s64, s88                                   // 000000002C1C: 8F515840
	s_mul_i32 s60, s3, 4                                       // 000000002C20: 923C8403
	s_add_u32 s44, s60, s44                                    // 000000002C24: 802C2C3C
	s_addc_u32 s45, 0, s45                                     // 000000002C28: 822D2D80
	s_load_dword s5, s[44:45], 0x0                             // 000000002C2C: C0020156 00000000
	s_mul_i32 s60, s3, 16                                      // 000000002C34: 923C9003
	s_mul_i32 s60, 4, s60                                      // 000000002C38: 923C3C84
	s_add_u32 s12, s60, s12                                    // 000000002C3C: 800C0C3C
	s_addc_u32 s13, 0, s13                                     // 000000002C40: 820D0D80
	v_and_b32_e32 v4, 15, v0                                   // 000000002C44: 2608008F
	v_lshlrev_b32_e32 v4, 2, v4                                // 000000002C48: 24080882
	buffer_load_dword v29, v4, s[12:15], 0 offen               // 000000002C4C: E0501000 80031D04
	v_add_u32_e32 v4, 64, v4                                   // 000000002C54: 680808C0
	s_mul_i32 s60, 4, s7                                       // 000000002C58: 923C0784
	v_lshlrev_b32_e32 v4, 4, v0                                // 000000002C5C: 24080084
	v_add_u32_e32 v4, s60, v4                                  // 000000002C60: 6808083C
	buffer_load_dword v3, v4, s[12:15], 0 offen                // 000000002C64: E0501000 80030304
	v_mov_b32_e32 v44, 0                                       // 000000002C6C: 7E580280
	v_mov_b32_e32 v76, 0                                       // 000000002C70: 7E980280
	v_mov_b32_e32 v45, 0                                       // 000000002C74: 7E5A0280
	v_mov_b32_e32 v77, 0                                       // 000000002C78: 7E9A0280
	v_mov_b32_e32 v46, 0                                       // 000000002C7C: 7E5C0280
	v_mov_b32_e32 v78, 0                                       // 000000002C80: 7E9C0280
	v_mov_b32_e32 v47, 0                                       // 000000002C84: 7E5E0280
	v_mov_b32_e32 v79, 0                                       // 000000002C88: 7E9E0280
	v_mov_b32_e32 v48, 0                                       // 000000002C8C: 7E600280
	v_mov_b32_e32 v80, 0                                       // 000000002C90: 7EA00280
	v_mov_b32_e32 v49, 0                                       // 000000002C94: 7E620280
	v_mov_b32_e32 v81, 0                                       // 000000002C98: 7EA20280
	v_mov_b32_e32 v50, 0                                       // 000000002C9C: 7E640280
	v_mov_b32_e32 v82, 0                                       // 000000002CA0: 7EA40280
	v_mov_b32_e32 v51, 0                                       // 000000002CA4: 7E660280
	v_mov_b32_e32 v83, 0                                       // 000000002CA8: 7EA60280
	v_mov_b32_e32 v52, 0                                       // 000000002CAC: 7E680280
	v_mov_b32_e32 v84, 0                                       // 000000002CB0: 7EA80280
	v_mov_b32_e32 v53, 0                                       // 000000002CB4: 7E6A0280
	v_mov_b32_e32 v85, 0                                       // 000000002CB8: 7EAA0280
	v_mov_b32_e32 v54, 0                                       // 000000002CBC: 7E6C0280
	v_mov_b32_e32 v86, 0                                       // 000000002CC0: 7EAC0280
	v_mov_b32_e32 v55, 0                                       // 000000002CC4: 7E6E0280
	v_mov_b32_e32 v87, 0                                       // 000000002CC8: 7EAE0280
	v_mov_b32_e32 v56, 0                                       // 000000002CCC: 7E700280
	v_mov_b32_e32 v88, 0                                       // 000000002CD0: 7EB00280
	v_mov_b32_e32 v57, 0                                       // 000000002CD4: 7E720280
	v_mov_b32_e32 v89, 0                                       // 000000002CD8: 7EB20280
	v_mov_b32_e32 v58, 0                                       // 000000002CDC: 7E740280
	v_mov_b32_e32 v90, 0                                       // 000000002CE0: 7EB40280
	v_mov_b32_e32 v59, 0                                       // 000000002CE4: 7E760280
	v_mov_b32_e32 v91, 0                                       // 000000002CE8: 7EB60280
	v_mov_b32_e32 v60, 0                                       // 000000002CEC: 7E780280
	v_mov_b32_e32 v92, 0                                       // 000000002CF0: 7EB80280
	v_mov_b32_e32 v61, 0                                       // 000000002CF4: 7E7A0280
	v_mov_b32_e32 v93, 0                                       // 000000002CF8: 7EBA0280
	v_mov_b32_e32 v62, 0                                       // 000000002CFC: 7E7C0280
	v_mov_b32_e32 v94, 0                                       // 000000002D00: 7EBC0280
	v_mov_b32_e32 v63, 0                                       // 000000002D04: 7E7E0280
	v_mov_b32_e32 v95, 0                                       // 000000002D08: 7EBE0280
	v_mov_b32_e32 v64, 0                                       // 000000002D0C: 7E800280
	v_mov_b32_e32 v96, 0                                       // 000000002D10: 7EC00280
	v_mov_b32_e32 v65, 0                                       // 000000002D14: 7E820280
	v_mov_b32_e32 v97, 0                                       // 000000002D18: 7EC20280
	v_mov_b32_e32 v66, 0                                       // 000000002D1C: 7E840280
	v_mov_b32_e32 v98, 0                                       // 000000002D20: 7EC40280
	v_mov_b32_e32 v67, 0                                       // 000000002D24: 7E860280
	v_mov_b32_e32 v99, 0                                       // 000000002D28: 7EC60280
	v_mov_b32_e32 v68, 0                                       // 000000002D2C: 7E880280
	v_mov_b32_e32 v100, 0                                      // 000000002D30: 7EC80280
	v_mov_b32_e32 v69, 0                                       // 000000002D34: 7E8A0280
	v_mov_b32_e32 v101, 0                                      // 000000002D38: 7ECA0280
	v_mov_b32_e32 v70, 0                                       // 000000002D3C: 7E8C0280
	v_mov_b32_e32 v102, 0                                      // 000000002D40: 7ECC0280
	v_mov_b32_e32 v71, 0                                       // 000000002D44: 7E8E0280
	v_mov_b32_e32 v103, 0                                      // 000000002D48: 7ECE0280
	v_mov_b32_e32 v72, 0                                       // 000000002D4C: 7E900280
	v_mov_b32_e32 v104, 0                                      // 000000002D50: 7ED00280
	v_mov_b32_e32 v73, 0                                       // 000000002D54: 7E920280
	v_mov_b32_e32 v105, 0                                      // 000000002D58: 7ED20280
	v_mov_b32_e32 v74, 0                                       // 000000002D5C: 7E940280
	v_mov_b32_e32 v106, 0                                      // 000000002D60: 7ED40280
	v_mov_b32_e32 v75, 0                                       // 000000002D64: 7E960280
	v_mov_b32_e32 v107, 0                                      // 000000002D68: 7ED60280
	s_mul_i32 s60, s2, 0x400                                   // 000000002D6C: 923CFF02 00000400
	s_cmp_eq_u32 s88, 0                                        // 000000002D74: BF068058
	s_cselect_b32 s61, 1, 2                                    // 000000002D78: 853D8281
	s_mul_i32 s60, s60, s61                                    // 000000002D7C: 923C3D3C
	s_mov_b32 s90, s8                                          // 000000002D80: BEDA0008
	s_mov_b32 s91, s9                                          // 000000002D84: BEDB0009
	s_add_u32 s8, s60, s8                                      // 000000002D88: 8008083C
	s_addc_u32 s9, 0, s9                                       // 000000002D8C: 82090980
	v_lshrrev_b32_e32 v4, 4, v0                                // 000000002D90: 20080084
	v_mul_lo_u32 v20, 34, v4                                   // 000000002D94: D2850014 000208A2
	v_and_b32_e32 v4, 15, v0                                   // 000000002D9C: 2608008F
	v_mul_lo_u32 v5, 2, v4                                     // 000000002DA0: D2850005 00020882
	v_add_u32_e32 v20, v5, v20                                 // 000000002DA8: 68282905
	s_mul_i32 s60, s7, 0x88                                    // 000000002DAC: 923CFF07 00000088
	v_add_u32_e32 v20, s60, v20                                // 000000002DB4: 6828283C
	v_lshlrev_b32_e32 v20, 2, v20                              // 000000002DB8: 24282882
	v_and_b32_e32 v4, 31, v0                                   // 000000002DBC: 2608009F
	v_lshrrev_b32_e32 v4, 1, v4                                // 000000002DC0: 20080881
	v_mul_lo_u32 v21, 34, v4                                   // 000000002DC4: D2850015 000208A2
	v_lshrrev_b32_e32 v4, 5, v0                                // 000000002DCC: 20080085
	v_mul_lo_u32 v4, 8, v4                                     // 000000002DD0: D2850004 00020888
	v_add_u32_e32 v21, v21, v4                                 // 000000002DD8: 682A0915
	v_and_b32_e32 v5, 1, v0                                    // 000000002DDC: 260A0081
	v_add_u32_e32 v21, v5, v21                                 // 000000002DE0: 682A2B05
	s_mul_i32 s60, s7, 2                                       // 000000002DE4: 923C8207
	v_add_u32_e32 v21, s60, v21                                // 000000002DE8: 682A2A3C
	v_lshlrev_b32_e32 v21, 2, v21                              // 000000002DEC: 242A2A82
	s_mul_i32 s60, s7, 0x220                                   // 000000002DF0: 923CFF07 00000220
	s_add_u32 s48, 0, s60                                      // 000000002DF8: 80303C80
	s_add_u32 s49, 0x880, s48                                  // 000000002DFC: 803130FF 00000880
	v_lshrrev_b32_e32 v4, 4, v0                                // 000000002E04: 20080084
	v_lshlrev_b32_e32 v5, 2, v4                                // 000000002E08: 240A0882
	v_and_b32_e32 v4, 15, v0                                   // 000000002E0C: 2608008F
	v_lshrrev_b32_e32 v6, 2, v4                                // 000000002E10: 200C0882
	v_lshlrev_b32_e32 v6, 5, v6                                // 000000002E14: 240C0C85
	v_add_u32_e32 v5, v6, v5                                   // 000000002E18: 680A0B06
	v_and_b32_e32 v4, 3, v0                                    // 000000002E1C: 26080083
	v_mul_u32_u24_e32 v6, 0x88, v4                             // 000000002E20: 100C08FF 00000088
	v_add_u32_e32 v5, v6, v5                                   // 000000002E28: 680A0B06
	v_lshlrev_b32_e32 v2, 2, v5                                // 000000002E2C: 24040A82
	s_waitcnt lgkmcnt(0)                                       // 000000002E30: BF8CC07F
	s_mul_i32 s60, s2, 0x200                                   // 000000002E34: 923CFF02 00000200
	s_mul_i32 s60, s60, s69                                    // 000000002E3C: 923C453C
	s_mul_i32 s61, s5, s72                                     // 000000002E40: 923D4805
	s_add_u32 s60, s61, s60                                    // 000000002E44: 803C3C3D
	s_add_u32 s24, s60, s24                                    // 000000002E48: 8018183C
	s_addc_u32 s25, 0, s25                                     // 000000002E4C: 82191980
	s_lshr_b32 s60, s64, s88                                   // 000000002E50: 8F3C5840
	s_mul_i32 s60, s4, s60                                     // 000000002E54: 923C3C04
	s_lshr_b32 s60, s60, 7                                     // 000000002E58: 8F3C873C
	s_mul_i32 s60, s60, 0x800                                  // 000000002E5C: 923CFF3C 00000800
	s_add_u32 s24, s60, s24                                    // 000000002E64: 8018183C
	s_addc_u32 s25, 0, s25                                     // 000000002E68: 82191980
	s_lshr_b32 s60, s69, s88                                   // 000000002E6C: 8F3C5845
	s_mul_i32 s60, s4, s60                                     // 000000002E70: 923C3C04
	s_add_u32 s20, s60, s20                                    // 000000002E74: 8014143C
	s_addc_u32 s21, 0, s21                                     // 000000002E78: 82151580
	s_mul_i32 s60, s7, 16                                      // 000000002E7C: 923C9007
	s_mul_i32 s60, s60, s69                                    // 000000002E80: 923C453C
	v_lshlrev_b32_e32 v35, 4, v0                               // 000000002E84: 24460084
	v_add_u32_e32 v35, s60, v35                                // 000000002E88: 6846463C
	s_mul_i32 s60, 64, s69                                     // 000000002E8C: 923C45C0
	v_add_u32_e32 v36, s60, v35                                // 000000002E90: 6848463C
	v_add_u32_e32 v37, s60, v36                                // 000000002E94: 684A483C
	v_add_u32_e32 v38, s60, v37                                // 000000002E98: 684C4A3C
	v_add_u32_e32 v39, s60, v38                                // 000000002E9C: 684E4C3C
	v_add_u32_e32 v40, s60, v39                                // 000000002EA0: 68504E3C
	v_add_u32_e32 v41, s60, v40                                // 000000002EA4: 6852503C
	v_add_u32_e32 v42, s60, v41                                // 000000002EA8: 6854523C
	s_mov_b32 s84, s24                                         // 000000002EAC: BED40018
	s_mov_b32 s85, s25                                         // 000000002EB0: BED50019
	s_mov_b32 s86, s26                                         // 000000002EB4: BED6001A
	s_mov_b32 s87, s27                                         // 000000002EB8: BED7001B
	s_mul_i32 s60, s69, s65                                    // 000000002EBC: 923C4145
	s_add_u32 s84, s60, s84                                    // 000000002EC0: 8054543C
	s_addc_u32 s85, 0, s85                                     // 000000002EC4: 82555580
	v_lshrrev_b32_e32 v4, 4, v0                                // 000000002EC8: 20080084
	v_lshlrev_b32_e32 v5, 2, v4                                // 000000002ECC: 240A0882
	v_and_b32_e32 v4, 15, v0                                   // 000000002ED0: 2608008F
	v_lshrrev_b32_e32 v6, 2, v4                                // 000000002ED4: 200C0882
	v_lshlrev_b32_e32 v6, 6, v6                                // 000000002ED8: 240C0C86
	v_add_u32_e32 v5, v6, v5                                   // 000000002EDC: 680A0B06
	v_and_b32_e32 v4, 3, v0                                    // 000000002EE0: 26080083
	v_add_u32_e32 v5, v4, v5                                   // 000000002EE4: 680A0B04
	v_lshlrev_b32_e32 v22, 2, v5                               // 000000002EE8: 242C0A82
	v_add_u32_e32 v23, 0x400, v22                              // 000000002EEC: 682E2CFF 00000400
	s_mul_i32 s60, s7, 16                                      // 000000002EF4: 923C9007
	s_mul_i32 s60, s60, 4                                      // 000000002EF8: 923C843C
	v_add_u32_e32 v22, s60, v22                                // 000000002EFC: 682C2C3C
	v_add_u32_e32 v23, s60, v23                                // 000000002F00: 682E2E3C
	s_mul_i32 s60, s2, 0x200                                   // 000000002F04: 923CFF02 00000200
	s_mul_i32 s60, s60, 4                                      // 000000002F0C: 923C843C
	s_mul_i32 s61, s5, s74                                     // 000000002F10: 923D4A05
	s_add_u32 s61, s61, s60                                    // 000000002F14: 803D3C3D
	s_add_u32 s32, s61, s32                                    // 000000002F18: 8020203D
	s_addc_u32 s33, 0, s33                                     // 000000002F1C: 82212180
	s_mov_b32 s57, 0x80                                        // 000000002F20: BEB900FF 00000080
	s_mov_b32 s58, 0x800                                       // 000000002F28: BEBA00FF 00000800
	s_mov_b32 s83, s58                                         // 000000002F30: BED3003A
	s_mov_b32 s52, 0x7060302                                   // 000000002F34: BEB400FF 07060302
	s_mov_b32 s53, 0x400                                       // 000000002F3C: BEB500FF 00000400
	s_mov_b32 s54, 0x40100                                     // 000000002F44: BEB600FF 00040100
	s_mov_b32 s55, 0x4020100                                   // 000000002F4C: BEB700FF 04020100
	s_mov_b32 s6, 0x3fb8aa3b                                   // 000000002F54: BE8600FF 3FB8AA3B
	s_mov_b32 s78, 0xbd92220c                                  // 000000002F5C: BECE00FF BD92220C
	s_mov_b32 s79, 0xbd92220c                                  // 000000002F64: BECF00FF BD92220C
	s_mov_b32 m0, s48                                          // 000000002F6C: BEFC0030
	v_mov_b32_e32 v1, 0xbfcc4231                               // 000000002F70: 7E0202FF BFCC4231
	v_mov_b32_e32 v17, 0xffff0000                              // 000000002F78: 7E2202FF FFFF0000
	v_mov_b32_e32 v18, 0x7fff0000                              // 000000002F80: 7E2402FF 7FFF0000
	v_mov_b32_e32 v19, 0x7fff                                  // 000000002F88: 7E2602FF 00007FFF
	s_waitcnt vmcnt(0) expcnt(0) lgkmcnt(0)                    // 000000002F90: BF8C0000
	s_mul_i32 s60, s3, 16                                      // 000000002F94: 923C9003
	s_mul_i32 s60, 4, s60                                      // 000000002F98: 923C3C84
	s_add_u32 s40, s60, s40                                    // 000000002F9C: 8028283C
	s_addc_u32 s41, 0, s41                                     // 000000002FA0: 82292980
	v_and_b32_e32 v4, 15, v0                                   // 000000002FA4: 2608008F
	v_lshlrev_b32_e32 v4, 2, v4                                // 000000002FA8: 24080882
	buffer_load_dword v108, v4, s[40:43], 0 offen              // 000000002FAC: E0501000 800A6C04
	v_lshrrev_b32_e32 v4, 5, v0                                // 000000002FB4: 20080085
	v_xor_b32_e32 v5, 1, v4                                    // 000000002FB8: 2A0A0881
	v_readlane_b32 s82, v3, 0                                  // 000000002FBC: D2890052 00010103
	s_and_b32 s82, s82, 0xffffff                               // 000000002FC4: 8652FF52 00FFFFFF
	v_mul_lo_u32 v6, v5, s82                                   // 000000002FCC: D2850006 0000A505
	v_readlane_b32 s82, v3, 1                                  // 000000002FD4: D2890052 00010303
	s_and_b32 s82, s82, 0xffffff                               // 000000002FDC: 8652FF52 00FFFFFF
	v_mul_lo_u32 v7, v4, s82                                   // 000000002FE4: D2850007 0000A504
	v_add_u32_e32 v33, v6, v7                                  // 000000002FEC: 68420F06
	v_mul_lo_u32 v33, v33, s68                                 // 000000002FF0: D2850021 00008921
	v_readlane_b32 s82, v3, 2                                  // 000000002FF8: D2890052 00010503
	s_and_b32 s82, s82, 0xffffff                               // 000000003000: 8652FF52 00FFFFFF
	v_mul_lo_u32 v6, v5, s82                                   // 000000003008: D2850006 0000A505
	v_readlane_b32 s82, v3, 3                                  // 000000003010: D2890052 00010703
	s_and_b32 s82, s82, 0xffffff                               // 000000003018: 8652FF52 00FFFFFF
	v_mul_lo_u32 v7, v4, s82                                   // 000000003020: D2850007 0000A504
	v_add_u32_e32 v34, v6, v7                                  // 000000003028: 68440F06
	v_mul_lo_u32 v34, v34, s68                                 // 00000000302C: D2850022 00008922
	v_and_b32_e32 v4, 31, v0                                   // 000000003034: 2608009F
	v_lshlrev_b32_e32 v4, 2, v4                                // 000000003038: 24080882
	v_add_u32_e32 v33, v33, v4                                 // 00000000303C: 68420921
	v_add_u32_e32 v34, v34, v4                                 // 000000003040: 68440922
	v_and_b32_e32 v29, 0xffffff, v29                           // 000000003044: 263A3AFF 00FFFFFF
	v_lshlrev_b32_e32 v29, 2, v29                              // 00000000304C: 243A3A82
	s_lshl_b32 s3, s66, 2                                      // 000000003050: 8E038242
	buffer_load_dword v30, v29, s[28:31], 0 offen              // 000000003054: E0501000 80071E1D
	buffer_load_dword v25, v22, s[32:35], 0 offen              // 00000000305C: E0501000 80081916
	buffer_load_dword v26, v23, s[32:35], 0 offen              // 000000003064: E0501000 80081A17
	s_mul_i32 s60, 4, s65                                      // 00000000306C: 923C4184
	s_add_u32 s32, s60, s32                                    // 000000003070: 8020203C
	s_addc_u32 s33, 0, s33                                     // 000000003074: 82212180
	buffer_load_dword v27, v22, s[32:35], 0 offen              // 000000003078: E0501000 80081B16
	buffer_load_dword v28, v23, s[32:35], 0 offen              // 000000003080: E0501000 80081C17
	buffer_load_dword v33, s[20:23], 0 offen lds               // 000000003088: E0511000 80050021
	s_add_u32 m0, 0x100, s48                                   // 000000003090: 807C30FF 00000100
	buffer_load_dword v34, s[20:23], 0 offen lds               // 000000003098: E0511000 80050022
	s_add_u32 m0, 0, s49                                       // 0000000030A0: 807C3180
	s_add_u32 s20, s57, s20                                    // 0000000030A4: 80141439
	s_addc_u32 s21, 0, s21                                     // 0000000030A8: 82151580
	buffer_load_dword v33, s[20:23], 0 offen lds               // 0000000030AC: E0511000 80050021
	s_add_u32 m0, 0x100, s49                                   // 0000000030B4: 807C31FF 00000100
	buffer_load_dword v34, s[20:23], 0 offen lds               // 0000000030BC: E0511000 80050022
	s_add_u32 m0, 0, s48                                       // 0000000030C4: 807C3080
	s_add_u32 s20, s57, s20                                    // 0000000030C8: 80141439
	s_addc_u32 s21, 0, s21                                     // 0000000030CC: 82151580
	buffer_load_dwordx4 a[16:19], v35, s[24:27], 0 offen       // 0000000030D0: E05C1000 80861023
	buffer_load_dwordx4 a[20:23], v35, s[24:27], 0 offen offset:1024// 0000000030D8: E05C1400 80861423
	buffer_load_dwordx4 a[24:27], v36, s[24:27], 0 offen       // 0000000030E0: E05C1000 80861824
	buffer_load_dwordx4 a[28:31], v36, s[24:27], 0 offen offset:1024// 0000000030E8: E05C1400 80861C24
	buffer_load_dwordx4 a[32:35], v37, s[24:27], 0 offen       // 0000000030F0: E05C1000 80862025
	buffer_load_dwordx4 a[36:39], v37, s[24:27], 0 offen offset:1024// 0000000030F8: E05C1400 80862425
	buffer_load_dwordx4 a[40:43], v38, s[24:27], 0 offen       // 000000003100: E05C1000 80862826
	buffer_load_dwordx4 a[44:47], v38, s[24:27], 0 offen offset:1024// 000000003108: E05C1400 80862C26
	buffer_load_dwordx4 a[48:51], v39, s[24:27], 0 offen       // 000000003110: E05C1000 80863027
	buffer_load_dwordx4 a[52:55], v39, s[24:27], 0 offen offset:1024// 000000003118: E05C1400 80863427
	buffer_load_dwordx4 a[56:59], v40, s[24:27], 0 offen       // 000000003120: E05C1000 80863828
	buffer_load_dwordx4 a[60:63], v40, s[24:27], 0 offen offset:1024// 000000003128: E05C1400 80863C28
	buffer_load_dwordx4 a[64:67], v41, s[24:27], 0 offen       // 000000003130: E05C1000 80864029
	buffer_load_dwordx4 a[68:71], v41, s[24:27], 0 offen offset:1024// 000000003138: E05C1400 80864429
	buffer_load_dwordx4 a[72:75], v42, s[24:27], 0 offen       // 000000003140: E05C1000 8086482A
	buffer_load_dwordx4 a[76:79], v42, s[24:27], 0 offen offset:1024// 000000003148: E05C1400 80864C2A
	s_add_u32 s24, s58, s24                                    // 000000003150: 8018183A
	s_addc_u32 s25, 0, s25                                     // 000000003154: 82191980
	s_waitcnt vmcnt(18)                                        // 000000003158: BF8C4F72
	s_barrier                                                  // 00000000315C: BF8A0000
	ds_read_b128 a[0:3], v2                                    // 000000003160: DBFE0000 00000002
	ds_read_b128 a[4:7], v2 offset:64                          // 000000003168: DBFE0040 04000002
	s_cmp_lt_i32 s7, 2                                         // 000000003170: BF048207
	s_cbranch_scc0 label_0A6E                                  // 000000003174: BF84088D

0000000000003178 <label_01DE>:
	s_waitcnt vmcnt(14) lgkmcnt(0)                             // 000000003178: BF8C007E
	s_barrier                                                  // 00000000317C: BF8A0000
	v_mfma_f32_16x16x32_fp8_fp8 v[44:47], a[16:17], a[0:1], v[44:47]// 000000003180: D3F3002C 1CB20110
	v_mfma_f32_16x16x32_fp8_fp8 v[44:47], a[18:19], a[2:3], v[44:47]// 000000003188: D3F3002C 1CB20512
	buffer_load_dwordx4 a[80:83], v35, s[84:87], 0 offen       // 000000003190: E05C1000 80955023
	v_mfma_f32_16x16x32_fp8_fp8 v[44:47], a[20:21], a[4:5], v[44:47]// 000000003198: D3F3002C 1CB20914
	v_mfma_f32_16x16x32_fp8_fp8 v[44:47], a[22:23], a[6:7], v[44:47]// 0000000031A0: D3F3002C 1CB20D16
	s_waitcnt vmcnt(13)                                        // 0000000031A8: BF8C0F7D
	v_mfma_f32_16x16x32_fp8_fp8 v[48:51], a[24:25], a[0:1], v[48:51]// 0000000031AC: D3F30030 1CC20118
	v_mfma_f32_16x16x32_fp8_fp8 v[48:51], a[26:27], a[2:3], v[48:51]// 0000000031B4: D3F30030 1CC2051A
	buffer_load_dwordx4 a[84:87], v35, s[84:87], 0 offen offset:1024// 0000000031BC: E05C1400 80955423
	v_mfma_f32_16x16x32_fp8_fp8 v[48:51], a[28:29], a[4:5], v[48:51]// 0000000031C4: D3F30030 1CC2091C
	v_mfma_f32_16x16x32_fp8_fp8 v[48:51], a[30:31], a[6:7], v[48:51]// 0000000031CC: D3F30030 1CC20D1E
	s_waitcnt vmcnt(12)                                        // 0000000031D4: BF8C0F7C
	v_mfma_f32_16x16x32_fp8_fp8 v[52:55], a[32:33], a[0:1], v[52:55]// 0000000031D8: D3F30034 1CD20120
	v_mfma_f32_16x16x32_fp8_fp8 v[52:55], a[34:35], a[2:3], v[52:55]// 0000000031E0: D3F30034 1CD20522
	buffer_load_dwordx4 a[88:91], v36, s[84:87], 0 offen       // 0000000031E8: E05C1000 80955824
	v_mfma_f32_16x16x32_fp8_fp8 v[52:55], a[36:37], a[4:5], v[52:55]// 0000000031F0: D3F30034 1CD20924
	v_mfma_f32_16x16x32_fp8_fp8 v[52:55], a[38:39], a[6:7], v[52:55]// 0000000031F8: D3F30034 1CD20D26
	s_waitcnt vmcnt(11)                                        // 000000003200: BF8C0F7B
	v_mfma_f32_16x16x32_fp8_fp8 v[56:59], a[40:41], a[0:1], v[56:59]// 000000003204: D3F30038 1CE20128
	v_mfma_f32_16x16x32_fp8_fp8 v[56:59], a[42:43], a[2:3], v[56:59]// 00000000320C: D3F30038 1CE2052A
	buffer_load_dwordx4 a[92:95], v36, s[84:87], 0 offen offset:1024// 000000003214: E05C1400 80955C24
	v_mfma_f32_16x16x32_fp8_fp8 v[56:59], a[44:45], a[4:5], v[56:59]// 00000000321C: D3F30038 1CE2092C
	v_mfma_f32_16x16x32_fp8_fp8 v[56:59], a[46:47], a[6:7], v[56:59]// 000000003224: D3F30038 1CE20D2E
	s_waitcnt vmcnt(10)                                        // 00000000322C: BF8C0F7A
	v_mfma_f32_16x16x32_fp8_fp8 v[60:63], a[48:49], a[0:1], v[60:63]// 000000003230: D3F3003C 1CF20130
	v_mfma_f32_16x16x32_fp8_fp8 v[60:63], a[50:51], a[2:3], v[60:63]// 000000003238: D3F3003C 1CF20532
	buffer_load_dwordx4 a[96:99], v37, s[84:87], 0 offen       // 000000003240: E05C1000 80956025
	v_mfma_f32_16x16x32_fp8_fp8 v[60:63], a[52:53], a[4:5], v[60:63]// 000000003248: D3F3003C 1CF20934
	v_mfma_f32_16x16x32_fp8_fp8 v[60:63], a[54:55], a[6:7], v[60:63]// 000000003250: D3F3003C 1CF20D36
	s_waitcnt vmcnt(9)                                         // 000000003258: BF8C0F79
	v_mfma_f32_16x16x32_fp8_fp8 v[64:67], a[56:57], a[0:1], v[64:67]// 00000000325C: D3F30040 1D020138
	v_mfma_f32_16x16x32_fp8_fp8 v[64:67], a[58:59], a[2:3], v[64:67]// 000000003264: D3F30040 1D02053A
	buffer_load_dwordx4 a[100:103], v37, s[84:87], 0 offen offset:1024// 00000000326C: E05C1400 80956425
	v_mfma_f32_16x16x32_fp8_fp8 v[64:67], a[60:61], a[4:5], v[64:67]// 000000003274: D3F30040 1D02093C
	v_mfma_f32_16x16x32_fp8_fp8 v[64:67], a[62:63], a[6:7], v[64:67]// 00000000327C: D3F30040 1D020D3E
	s_waitcnt vmcnt(8)                                         // 000000003284: BF8C0F78
	v_mfma_f32_16x16x32_fp8_fp8 v[68:71], a[64:65], a[0:1], v[68:71]// 000000003288: D3F30044 1D120140
	v_mfma_f32_16x16x32_fp8_fp8 v[68:71], a[66:67], a[2:3], v[68:71]// 000000003290: D3F30044 1D120542
	buffer_load_dwordx4 a[104:107], v38, s[84:87], 0 offen     // 000000003298: E05C1000 80956826
	v_mfma_f32_16x16x32_fp8_fp8 v[68:71], a[68:69], a[4:5], v[68:71]// 0000000032A0: D3F30044 1D120944
	v_mfma_f32_16x16x32_fp8_fp8 v[68:71], a[70:71], a[6:7], v[68:71]// 0000000032A8: D3F30044 1D120D46
	s_waitcnt vmcnt(7)                                         // 0000000032B0: BF8C0F77
	v_mfma_f32_16x16x32_fp8_fp8 v[72:75], a[72:73], a[0:1], v[72:75]// 0000000032B4: D3F30048 1D220148
	v_mfma_f32_16x16x32_fp8_fp8 v[72:75], a[74:75], a[2:3], v[72:75]// 0000000032BC: D3F30048 1D22054A
	buffer_load_dwordx4 a[108:111], v38, s[84:87], 0 offen offset:1024// 0000000032C4: E05C1400 80956C26
	s_add_u32 s60, 0x80, s80                                   // 0000000032CC: 803C50FF 00000080
	s_cmp_lt_u32 s60, s81                                      // 0000000032D4: BF0A513C
	s_cselect_b32 s83, s83, 0                                  // 0000000032D8: 85538053
	v_mfma_f32_16x16x32_fp8_fp8 v[72:75], a[76:77], a[4:5], v[72:75]// 0000000032DC: D3F30048 1D22094C
	v_mfma_f32_16x16x32_fp8_fp8 v[72:75], a[78:79], a[6:7], v[72:75]// 0000000032E4: D3F30048 1D220D4E
	buffer_load_dwordx4 a[112:115], v39, s[84:87], 0 offen     // 0000000032EC: E05C1000 80957027
	buffer_load_dwordx4 a[116:119], v39, s[84:87], 0 offen offset:1024// 0000000032F4: E05C1400 80957427
	buffer_load_dwordx4 a[120:123], v40, s[84:87], 0 offen     // 0000000032FC: E05C1000 80957828
	buffer_load_dwordx4 a[124:127], v40, s[84:87], 0 offen offset:1024// 000000003304: E05C1400 80957C28
	buffer_load_dwordx4 a[128:131], v41, s[84:87], 0 offen     // 00000000330C: E05C1000 80958029
	buffer_load_dwordx4 a[132:135], v41, s[84:87], 0 offen offset:1024// 000000003314: E05C1400 80958429
	buffer_load_dwordx4 a[136:139], v42, s[84:87], 0 offen     // 00000000331C: E05C1000 8095882A
	buffer_load_dwordx4 a[140:143], v42, s[84:87], 0 offen offset:1024// 000000003324: E05C1400 80958C2A
	buffer_load_dword v33, s[20:23], 0 offen lds               // 00000000332C: E0511000 80050021
	s_add_u32 m0, 0x100, s48                                   // 000000003334: 807C30FF 00000100
	buffer_load_dword v34, s[20:23], 0 offen lds               // 00000000333C: E0511000 80050022
	s_add_u32 m0, 0, s49                                       // 000000003344: 807C3180
	s_waitcnt vmcnt(2)                                         // 000000003348: BF8C0F72
	v_mfma_f32_16x16x32_fp8_fp8 v[76:79], a[80:81], a[0:1], v[76:79]// 00000000334C: D3F3004C 1D320150
	v_mfma_f32_16x16x32_fp8_fp8 v[76:79], a[82:83], a[2:3], v[76:79]// 000000003354: D3F3004C 1D320552
	buffer_load_dwordx4 a[16:19], v35, s[24:27], 0 offen       // 00000000335C: E05C1000 80861023
	v_mfma_f32_16x16x32_fp8_fp8 v[76:79], a[84:85], a[4:5], v[76:79]// 000000003364: D3F3004C 1D320954
	v_mfma_f32_16x16x32_fp8_fp8 v[76:79], a[86:87], a[6:7], v[76:79]// 00000000336C: D3F3004C 1D320D56
	ds_read_b128 a[8:11], v2 offset:2176                       // 000000003374: DBFE0880 08000002
	ds_read_b128 a[12:15], v2 offset:2240                      // 00000000337C: DBFE08C0 0C000002
	v_mfma_f32_16x16x32_fp8_fp8 v[80:83], a[88:89], a[0:1], v[80:83]// 000000003384: D3F30050 1D420158
	v_mfma_f32_16x16x32_fp8_fp8 v[80:83], a[90:91], a[2:3], v[80:83]// 00000000338C: D3F30050 1D42055A
	buffer_load_dwordx4 a[20:23], v35, s[24:27], 0 offen offset:1024// 000000003394: E05C1400 80861423
	v_mfma_f32_16x16x32_fp8_fp8 v[80:83], a[92:93], a[4:5], v[80:83]// 00000000339C: D3F30050 1D42095C
	v_mfma_f32_16x16x32_fp8_fp8 v[80:83], a[94:95], a[6:7], v[80:83]// 0000000033A4: D3F30050 1D420D5E
	v_mfma_f32_16x16x32_fp8_fp8 v[84:87], a[96:97], a[0:1], v[84:87]// 0000000033AC: D3F30054 1D520160
	v_mfma_f32_16x16x32_fp8_fp8 v[84:87], a[98:99], a[2:3], v[84:87]// 0000000033B4: D3F30054 1D520562
	buffer_load_dwordx4 a[24:27], v36, s[24:27], 0 offen       // 0000000033BC: E05C1000 80861824
	v_mfma_f32_16x16x32_fp8_fp8 v[84:87], a[100:101], a[4:5], v[84:87]// 0000000033C4: D3F30054 1D520964
	v_mfma_f32_16x16x32_fp8_fp8 v[84:87], a[102:103], a[6:7], v[84:87]// 0000000033CC: D3F30054 1D520D66
	v_mfma_f32_16x16x32_fp8_fp8 v[88:91], a[104:105], a[0:1], v[88:91]// 0000000033D4: D3F30058 1D620168
	v_mfma_f32_16x16x32_fp8_fp8 v[88:91], a[106:107], a[2:3], v[88:91]// 0000000033DC: D3F30058 1D62056A
	buffer_load_dwordx4 a[28:31], v36, s[24:27], 0 offen offset:1024// 0000000033E4: E05C1400 80861C24
	v_mfma_f32_16x16x32_fp8_fp8 v[88:91], a[108:109], a[4:5], v[88:91]// 0000000033EC: D3F30058 1D62096C
	v_mfma_f32_16x16x32_fp8_fp8 v[88:91], a[110:111], a[6:7], v[88:91]// 0000000033F4: D3F30058 1D620D6E
	v_mfma_f32_16x16x32_fp8_fp8 v[92:95], a[112:113], a[0:1], v[92:95]// 0000000033FC: D3F3005C 1D720170
	v_mfma_f32_16x16x32_fp8_fp8 v[92:95], a[114:115], a[2:3], v[92:95]// 000000003404: D3F3005C 1D720572
	buffer_load_dwordx4 a[32:35], v37, s[24:27], 0 offen       // 00000000340C: E05C1000 80862025
	v_mfma_f32_16x16x32_fp8_fp8 v[92:95], a[116:117], a[4:5], v[92:95]// 000000003414: D3F3005C 1D720974
	v_mfma_f32_16x16x32_fp8_fp8 v[92:95], a[118:119], a[6:7], v[92:95]// 00000000341C: D3F3005C 1D720D76
	v_mfma_f32_16x16x32_fp8_fp8 v[96:99], a[120:121], a[0:1], v[96:99]// 000000003424: D3F30060 1D820178
	v_mfma_f32_16x16x32_fp8_fp8 v[96:99], a[122:123], a[2:3], v[96:99]// 00000000342C: D3F30060 1D82057A
	buffer_load_dwordx4 a[36:39], v37, s[24:27], 0 offen offset:1024// 000000003434: E05C1400 80862425
	v_mfma_f32_16x16x32_fp8_fp8 v[96:99], a[124:125], a[4:5], v[96:99]// 00000000343C: D3F30060 1D82097C
	v_mfma_f32_16x16x32_fp8_fp8 v[96:99], a[126:127], a[6:7], v[96:99]// 000000003444: D3F30060 1D820D7E
	v_mfma_f32_16x16x32_fp8_fp8 v[100:103], a[128:129], a[0:1], v[100:103]// 00000000344C: D3F30064 1D920180
	v_mfma_f32_16x16x32_fp8_fp8 v[100:103], a[130:131], a[2:3], v[100:103]// 000000003454: D3F30064 1D920582
	buffer_load_dwordx4 a[40:43], v38, s[24:27], 0 offen       // 00000000345C: E05C1000 80862826
	v_mfma_f32_16x16x32_fp8_fp8 v[100:103], a[132:133], a[4:5], v[100:103]// 000000003464: D3F30064 1D920984
	s_add_u32 s60, 0x180, s80                                  // 00000000346C: 803C50FF 00000180
	s_cmp_lt_u32 s60, s81                                      // 000000003474: BF0A513C
	s_cselect_b32 s57, s57, 0                                  // 000000003478: 85398039
	v_mfma_f32_16x16x32_fp8_fp8 v[100:103], a[134:135], a[6:7], v[100:103]// 00000000347C: D3F30064 1D920D86
	s_add_u32 s60, 0x100, s80                                  // 000000003484: 803C50FF 00000100
	s_cmp_lt_u32 s60, s81                                      // 00000000348C: BF0A513C
	s_cselect_b32 s58, s58, 0                                  // 000000003490: 853A803A
	v_mfma_f32_16x16x32_fp8_fp8 v[104:107], a[136:137], a[0:1], v[104:107]// 000000003494: D3F30068 1DA20188
	v_mfma_f32_16x16x32_fp8_fp8 v[104:107], a[138:139], a[2:3], v[104:107]// 00000000349C: D3F30068 1DA2058A
	buffer_load_dwordx4 a[44:47], v38, s[24:27], 0 offen offset:1024// 0000000034A4: E05C1400 80862C26
	s_add_u32 s20, s57, s20                                    // 0000000034AC: 80141439
	s_addc_u32 s21, 0, s21                                     // 0000000034B0: 82151580
	v_mfma_f32_16x16x32_fp8_fp8 v[104:107], a[140:141], a[4:5], v[104:107]// 0000000034B4: D3F30068 1DA2098C
	s_add_u32 s84, s83, s84                                    // 0000000034BC: 80545453
	s_addc_u32 s85, 0, s85                                     // 0000000034C0: 82555580
	v_mfma_f32_16x16x32_fp8_fp8 v[104:107], a[142:143], a[6:7], v[104:107]// 0000000034C4: D3F30068 1DA20D8E
	buffer_load_dwordx4 a[48:51], v39, s[24:27], 0 offen       // 0000000034CC: E05C1000 80863027
	buffer_load_dwordx4 a[52:55], v39, s[24:27], 0 offen offset:1024// 0000000034D4: E05C1400 80863427
	buffer_load_dwordx4 a[56:59], v40, s[24:27], 0 offen       // 0000000034DC: E05C1000 80863828
	buffer_load_dwordx4 a[60:63], v40, s[24:27], 0 offen offset:1024// 0000000034E4: E05C1400 80863C28
	buffer_load_dwordx4 a[64:67], v41, s[24:27], 0 offen       // 0000000034EC: E05C1000 80864029
	buffer_load_dwordx4 a[68:71], v41, s[24:27], 0 offen offset:1024// 0000000034F4: E05C1400 80864429
	buffer_load_dwordx4 a[72:75], v42, s[24:27], 0 offen       // 0000000034FC: E05C1000 8086482A
	buffer_load_dwordx4 a[76:79], v42, s[24:27], 0 offen offset:1024// 000000003504: E05C1400 80864C2A
	s_add_u32 s24, s58, s24                                    // 00000000350C: 8018183A
	s_addc_u32 s25, 0, s25                                     // 000000003510: 82191980
	s_addk_i32 s80, 0x80                                       // 000000003514: B7500080
	s_cmp_lt_i32 s80, s81                                      // 000000003518: BF045150
	s_cbranch_scc0 label_03B3                                  // 00000000351C: BF8400EB
	s_waitcnt vmcnt(14) lgkmcnt(0)                             // 000000003520: BF8C007E
	s_barrier                                                  // 000000003524: BF8A0000
	v_mfma_f32_16x16x32_fp8_fp8 v[44:47], a[16:17], a[8:9], v[44:47]// 000000003528: D3F3002C 1CB21110
	v_mfma_f32_16x16x32_fp8_fp8 v[44:47], a[18:19], a[10:11], v[44:47]// 000000003530: D3F3002C 1CB21512
	buffer_load_dwordx4 a[80:83], v35, s[84:87], 0 offen       // 000000003538: E05C1000 80955023
	v_mfma_f32_16x16x32_fp8_fp8 v[44:47], a[20:21], a[12:13], v[44:47]// 000000003540: D3F3002C 1CB21914
	v_mfma_f32_16x16x32_fp8_fp8 v[44:47], a[22:23], a[14:15], v[44:47]// 000000003548: D3F3002C 1CB21D16
	s_waitcnt vmcnt(13)                                        // 000000003550: BF8C0F7D
	v_mfma_f32_16x16x32_fp8_fp8 v[48:51], a[24:25], a[8:9], v[48:51]// 000000003554: D3F30030 1CC21118
	v_mfma_f32_16x16x32_fp8_fp8 v[48:51], a[26:27], a[10:11], v[48:51]// 00000000355C: D3F30030 1CC2151A
	buffer_load_dwordx4 a[84:87], v35, s[84:87], 0 offen offset:1024// 000000003564: E05C1400 80955423
	v_mfma_f32_16x16x32_fp8_fp8 v[48:51], a[28:29], a[12:13], v[48:51]// 00000000356C: D3F30030 1CC2191C
	v_mfma_f32_16x16x32_fp8_fp8 v[48:51], a[30:31], a[14:15], v[48:51]// 000000003574: D3F30030 1CC21D1E
	s_waitcnt vmcnt(12)                                        // 00000000357C: BF8C0F7C
	v_mfma_f32_16x16x32_fp8_fp8 v[52:55], a[32:33], a[8:9], v[52:55]// 000000003580: D3F30034 1CD21120
	v_mfma_f32_16x16x32_fp8_fp8 v[52:55], a[34:35], a[10:11], v[52:55]// 000000003588: D3F30034 1CD21522
	buffer_load_dwordx4 a[88:91], v36, s[84:87], 0 offen       // 000000003590: E05C1000 80955824
	v_mfma_f32_16x16x32_fp8_fp8 v[52:55], a[36:37], a[12:13], v[52:55]// 000000003598: D3F30034 1CD21924
	v_mfma_f32_16x16x32_fp8_fp8 v[52:55], a[38:39], a[14:15], v[52:55]// 0000000035A0: D3F30034 1CD21D26
	s_waitcnt vmcnt(11)                                        // 0000000035A8: BF8C0F7B
	v_mfma_f32_16x16x32_fp8_fp8 v[56:59], a[40:41], a[8:9], v[56:59]// 0000000035AC: D3F30038 1CE21128
	v_mfma_f32_16x16x32_fp8_fp8 v[56:59], a[42:43], a[10:11], v[56:59]// 0000000035B4: D3F30038 1CE2152A
	buffer_load_dwordx4 a[92:95], v36, s[84:87], 0 offen offset:1024// 0000000035BC: E05C1400 80955C24
	v_mfma_f32_16x16x32_fp8_fp8 v[56:59], a[44:45], a[12:13], v[56:59]// 0000000035C4: D3F30038 1CE2192C
	v_mfma_f32_16x16x32_fp8_fp8 v[56:59], a[46:47], a[14:15], v[56:59]// 0000000035CC: D3F30038 1CE21D2E
	s_waitcnt vmcnt(10)                                        // 0000000035D4: BF8C0F7A
	v_mfma_f32_16x16x32_fp8_fp8 v[60:63], a[48:49], a[8:9], v[60:63]// 0000000035D8: D3F3003C 1CF21130
	v_mfma_f32_16x16x32_fp8_fp8 v[60:63], a[50:51], a[10:11], v[60:63]// 0000000035E0: D3F3003C 1CF21532
	buffer_load_dwordx4 a[96:99], v37, s[84:87], 0 offen       // 0000000035E8: E05C1000 80956025
	v_mfma_f32_16x16x32_fp8_fp8 v[60:63], a[52:53], a[12:13], v[60:63]// 0000000035F0: D3F3003C 1CF21934
	v_mfma_f32_16x16x32_fp8_fp8 v[60:63], a[54:55], a[14:15], v[60:63]// 0000000035F8: D3F3003C 1CF21D36
	s_waitcnt vmcnt(9)                                         // 000000003600: BF8C0F79
	v_mfma_f32_16x16x32_fp8_fp8 v[64:67], a[56:57], a[8:9], v[64:67]// 000000003604: D3F30040 1D021138
	v_mfma_f32_16x16x32_fp8_fp8 v[64:67], a[58:59], a[10:11], v[64:67]// 00000000360C: D3F30040 1D02153A
	buffer_load_dwordx4 a[100:103], v37, s[84:87], 0 offen offset:1024// 000000003614: E05C1400 80956425
	v_mfma_f32_16x16x32_fp8_fp8 v[64:67], a[60:61], a[12:13], v[64:67]// 00000000361C: D3F30040 1D02193C
	v_mfma_f32_16x16x32_fp8_fp8 v[64:67], a[62:63], a[14:15], v[64:67]// 000000003624: D3F30040 1D021D3E
	s_waitcnt vmcnt(8)                                         // 00000000362C: BF8C0F78
	v_mfma_f32_16x16x32_fp8_fp8 v[68:71], a[64:65], a[8:9], v[68:71]// 000000003630: D3F30044 1D121140
	v_mfma_f32_16x16x32_fp8_fp8 v[68:71], a[66:67], a[10:11], v[68:71]// 000000003638: D3F30044 1D121542
	buffer_load_dwordx4 a[104:107], v38, s[84:87], 0 offen     // 000000003640: E05C1000 80956826
	v_mfma_f32_16x16x32_fp8_fp8 v[68:71], a[68:69], a[12:13], v[68:71]// 000000003648: D3F30044 1D121944
	v_mfma_f32_16x16x32_fp8_fp8 v[68:71], a[70:71], a[14:15], v[68:71]// 000000003650: D3F30044 1D121D46
	s_waitcnt vmcnt(7)                                         // 000000003658: BF8C0F77
	v_mfma_f32_16x16x32_fp8_fp8 v[72:75], a[72:73], a[8:9], v[72:75]// 00000000365C: D3F30048 1D221148
	v_mfma_f32_16x16x32_fp8_fp8 v[72:75], a[74:75], a[10:11], v[72:75]// 000000003664: D3F30048 1D22154A
	buffer_load_dwordx4 a[108:111], v38, s[84:87], 0 offen offset:1024// 00000000366C: E05C1400 80956C26
	s_add_u32 s60, 0x80, s80                                   // 000000003674: 803C50FF 00000080
	s_cmp_lt_u32 s60, s81                                      // 00000000367C: BF0A513C
	s_cselect_b32 s83, s83, 0                                  // 000000003680: 85538053
	v_mfma_f32_16x16x32_fp8_fp8 v[72:75], a[76:77], a[12:13], v[72:75]// 000000003684: D3F30048 1D22194C
	v_mfma_f32_16x16x32_fp8_fp8 v[72:75], a[78:79], a[14:15], v[72:75]// 00000000368C: D3F30048 1D221D4E
	buffer_load_dwordx4 a[112:115], v39, s[84:87], 0 offen     // 000000003694: E05C1000 80957027
	buffer_load_dwordx4 a[116:119], v39, s[84:87], 0 offen offset:1024// 00000000369C: E05C1400 80957427
	buffer_load_dwordx4 a[120:123], v40, s[84:87], 0 offen     // 0000000036A4: E05C1000 80957828
	buffer_load_dwordx4 a[124:127], v40, s[84:87], 0 offen offset:1024// 0000000036AC: E05C1400 80957C28
	buffer_load_dwordx4 a[128:131], v41, s[84:87], 0 offen     // 0000000036B4: E05C1000 80958029
	buffer_load_dwordx4 a[132:135], v41, s[84:87], 0 offen offset:1024// 0000000036BC: E05C1400 80958429
	buffer_load_dwordx4 a[136:139], v42, s[84:87], 0 offen     // 0000000036C4: E05C1000 8095882A
	buffer_load_dwordx4 a[140:143], v42, s[84:87], 0 offen offset:1024// 0000000036CC: E05C1400 80958C2A
	buffer_load_dword v33, s[20:23], 0 offen lds               // 0000000036D4: E0511000 80050021
	s_add_u32 m0, 0x100, s49                                   // 0000000036DC: 807C31FF 00000100
	buffer_load_dword v34, s[20:23], 0 offen lds               // 0000000036E4: E0511000 80050022
	s_add_u32 m0, 0, s48                                       // 0000000036EC: 807C3080
	s_waitcnt vmcnt(2)                                         // 0000000036F0: BF8C0F72
	v_mfma_f32_16x16x32_fp8_fp8 v[76:79], a[80:81], a[8:9], v[76:79]// 0000000036F4: D3F3004C 1D321150
	v_mfma_f32_16x16x32_fp8_fp8 v[76:79], a[82:83], a[10:11], v[76:79]// 0000000036FC: D3F3004C 1D321552
	buffer_load_dwordx4 a[16:19], v35, s[24:27], 0 offen       // 000000003704: E05C1000 80861023
	v_mfma_f32_16x16x32_fp8_fp8 v[76:79], a[84:85], a[12:13], v[76:79]// 00000000370C: D3F3004C 1D321954
	v_mfma_f32_16x16x32_fp8_fp8 v[76:79], a[86:87], a[14:15], v[76:79]// 000000003714: D3F3004C 1D321D56
	ds_read_b128 a[0:3], v2                                    // 00000000371C: DBFE0000 00000002
	ds_read_b128 a[4:7], v2 offset:64                          // 000000003724: DBFE0040 04000002
	v_mfma_f32_16x16x32_fp8_fp8 v[80:83], a[88:89], a[8:9], v[80:83]// 00000000372C: D3F30050 1D421158
	v_mfma_f32_16x16x32_fp8_fp8 v[80:83], a[90:91], a[10:11], v[80:83]// 000000003734: D3F30050 1D42155A
	buffer_load_dwordx4 a[20:23], v35, s[24:27], 0 offen offset:1024// 00000000373C: E05C1400 80861423
	v_mfma_f32_16x16x32_fp8_fp8 v[80:83], a[92:93], a[12:13], v[80:83]// 000000003744: D3F30050 1D42195C
	v_mfma_f32_16x16x32_fp8_fp8 v[80:83], a[94:95], a[14:15], v[80:83]// 00000000374C: D3F30050 1D421D5E
	v_mfma_f32_16x16x32_fp8_fp8 v[84:87], a[96:97], a[8:9], v[84:87]// 000000003754: D3F30054 1D521160
	v_mfma_f32_16x16x32_fp8_fp8 v[84:87], a[98:99], a[10:11], v[84:87]// 00000000375C: D3F30054 1D521562
	buffer_load_dwordx4 a[24:27], v36, s[24:27], 0 offen       // 000000003764: E05C1000 80861824
	v_mfma_f32_16x16x32_fp8_fp8 v[84:87], a[100:101], a[12:13], v[84:87]// 00000000376C: D3F30054 1D521964
	v_mfma_f32_16x16x32_fp8_fp8 v[84:87], a[102:103], a[14:15], v[84:87]// 000000003774: D3F30054 1D521D66
	v_mfma_f32_16x16x32_fp8_fp8 v[88:91], a[104:105], a[8:9], v[88:91]// 00000000377C: D3F30058 1D621168
	v_mfma_f32_16x16x32_fp8_fp8 v[88:91], a[106:107], a[10:11], v[88:91]// 000000003784: D3F30058 1D62156A
	buffer_load_dwordx4 a[28:31], v36, s[24:27], 0 offen offset:1024// 00000000378C: E05C1400 80861C24
	v_mfma_f32_16x16x32_fp8_fp8 v[88:91], a[108:109], a[12:13], v[88:91]// 000000003794: D3F30058 1D62196C
	v_mfma_f32_16x16x32_fp8_fp8 v[88:91], a[110:111], a[14:15], v[88:91]// 00000000379C: D3F30058 1D621D6E
	v_mfma_f32_16x16x32_fp8_fp8 v[92:95], a[112:113], a[8:9], v[92:95]// 0000000037A4: D3F3005C 1D721170
	v_mfma_f32_16x16x32_fp8_fp8 v[92:95], a[114:115], a[10:11], v[92:95]// 0000000037AC: D3F3005C 1D721572
	buffer_load_dwordx4 a[32:35], v37, s[24:27], 0 offen       // 0000000037B4: E05C1000 80862025
	v_mfma_f32_16x16x32_fp8_fp8 v[92:95], a[116:117], a[12:13], v[92:95]// 0000000037BC: D3F3005C 1D721974
	v_mfma_f32_16x16x32_fp8_fp8 v[92:95], a[118:119], a[14:15], v[92:95]// 0000000037C4: D3F3005C 1D721D76
	v_mfma_f32_16x16x32_fp8_fp8 v[96:99], a[120:121], a[8:9], v[96:99]// 0000000037CC: D3F30060 1D821178
	v_mfma_f32_16x16x32_fp8_fp8 v[96:99], a[122:123], a[10:11], v[96:99]// 0000000037D4: D3F30060 1D82157A
	buffer_load_dwordx4 a[36:39], v37, s[24:27], 0 offen offset:1024// 0000000037DC: E05C1400 80862425
	v_mfma_f32_16x16x32_fp8_fp8 v[96:99], a[124:125], a[12:13], v[96:99]// 0000000037E4: D3F30060 1D82197C
	v_mfma_f32_16x16x32_fp8_fp8 v[96:99], a[126:127], a[14:15], v[96:99]// 0000000037EC: D3F30060 1D821D7E
	v_mfma_f32_16x16x32_fp8_fp8 v[100:103], a[128:129], a[8:9], v[100:103]// 0000000037F4: D3F30064 1D921180
	v_mfma_f32_16x16x32_fp8_fp8 v[100:103], a[130:131], a[10:11], v[100:103]// 0000000037FC: D3F30064 1D921582
	buffer_load_dwordx4 a[40:43], v38, s[24:27], 0 offen       // 000000003804: E05C1000 80862826
	v_mfma_f32_16x16x32_fp8_fp8 v[100:103], a[132:133], a[12:13], v[100:103]// 00000000380C: D3F30064 1D921984
	s_add_u32 s60, 0x180, s80                                  // 000000003814: 803C50FF 00000180
	s_cmp_lt_u32 s60, s81                                      // 00000000381C: BF0A513C
	s_cselect_b32 s57, s57, 0                                  // 000000003820: 85398039
	v_mfma_f32_16x16x32_fp8_fp8 v[100:103], a[134:135], a[14:15], v[100:103]// 000000003824: D3F30064 1D921D86
	s_add_u32 s60, 0x100, s80                                  // 00000000382C: 803C50FF 00000100
	s_cmp_lt_u32 s60, s81                                      // 000000003834: BF0A513C
	s_cselect_b32 s58, s58, 0                                  // 000000003838: 853A803A
	v_mfma_f32_16x16x32_fp8_fp8 v[104:107], a[136:137], a[8:9], v[104:107]// 00000000383C: D3F30068 1DA21188
	v_mfma_f32_16x16x32_fp8_fp8 v[104:107], a[138:139], a[10:11], v[104:107]// 000000003844: D3F30068 1DA2158A
	buffer_load_dwordx4 a[44:47], v38, s[24:27], 0 offen offset:1024// 00000000384C: E05C1400 80862C26
	s_add_u32 s20, s57, s20                                    // 000000003854: 80141439
	s_addc_u32 s21, 0, s21                                     // 000000003858: 82151580
	v_mfma_f32_16x16x32_fp8_fp8 v[104:107], a[140:141], a[12:13], v[104:107]// 00000000385C: D3F30068 1DA2198C
	s_add_u32 s84, s83, s84                                    // 000000003864: 80545453
	s_addc_u32 s85, 0, s85                                     // 000000003868: 82555580
	v_mfma_f32_16x16x32_fp8_fp8 v[104:107], a[142:143], a[14:15], v[104:107]// 00000000386C: D3F30068 1DA21D8E
	buffer_load_dwordx4 a[48:51], v39, s[24:27], 0 offen       // 000000003874: E05C1000 80863027
	buffer_load_dwordx4 a[52:55], v39, s[24:27], 0 offen offset:1024// 00000000387C: E05C1400 80863427
	buffer_load_dwordx4 a[56:59], v40, s[24:27], 0 offen       // 000000003884: E05C1000 80863828
	buffer_load_dwordx4 a[60:63], v40, s[24:27], 0 offen offset:1024// 00000000388C: E05C1400 80863C28
	buffer_load_dwordx4 a[64:67], v41, s[24:27], 0 offen       // 000000003894: E05C1000 80864029
	buffer_load_dwordx4 a[68:71], v41, s[24:27], 0 offen offset:1024// 00000000389C: E05C1400 80864429
	buffer_load_dwordx4 a[72:75], v42, s[24:27], 0 offen       // 0000000038A4: E05C1000 8086482A
	buffer_load_dwordx4 a[76:79], v42, s[24:27], 0 offen offset:1024// 0000000038AC: E05C1400 80864C2A
	s_add_u32 s24, s58, s24                                    // 0000000038B4: 8018183A
	s_addc_u32 s25, 0, s25                                     // 0000000038B8: 82191980
	s_addk_i32 s80, 0x80                                       // 0000000038BC: B7500080
	s_cmp_lt_i32 s80, s81                                      // 0000000038C0: BF045150
	s_cbranch_scc0 label_03B3                                  // 0000000038C4: BF840001
	s_branch label_01DE                                        // 0000000038C8: BF82FE2B

00000000000038cc <label_03B3>:
	v_mul_f32_dpp v44, v25, v44 row_newbcast:0 row_mask:0xf bank_mask:0xf// 0000000038CC: 0A5858FA FF015019
	v_mul_f32_dpp v45, v25, v45 row_newbcast:1 row_mask:0xf bank_mask:0xf// 0000000038D4: 0A5A5AFA FF015119
	v_mul_f32_dpp v46, v25, v46 row_newbcast:2 row_mask:0xf bank_mask:0xf// 0000000038DC: 0A5C5CFA FF015219
	v_mul_f32_dpp v47, v25, v47 row_newbcast:3 row_mask:0xf bank_mask:0xf// 0000000038E4: 0A5E5EFA FF015319
	v_mul_f32_dpp v48, v25, v48 row_newbcast:4 row_mask:0xf bank_mask:0xf// 0000000038EC: 0A6060FA FF015419
	v_mul_f32_dpp v49, v25, v49 row_newbcast:5 row_mask:0xf bank_mask:0xf// 0000000038F4: 0A6262FA FF015519
	v_mul_f32_dpp v50, v25, v50 row_newbcast:6 row_mask:0xf bank_mask:0xf// 0000000038FC: 0A6464FA FF015619
	v_mul_f32_dpp v51, v25, v51 row_newbcast:7 row_mask:0xf bank_mask:0xf// 000000003904: 0A6666FA FF015719
	v_mul_f32_dpp v52, v25, v52 row_newbcast:8 row_mask:0xf bank_mask:0xf// 00000000390C: 0A6868FA FF015819
	v_mul_f32_dpp v53, v25, v53 row_newbcast:9 row_mask:0xf bank_mask:0xf// 000000003914: 0A6A6AFA FF015919
	v_mul_f32_dpp v54, v25, v54 row_newbcast:10 row_mask:0xf bank_mask:0xf// 00000000391C: 0A6C6CFA FF015A19
	v_mul_f32_dpp v55, v25, v55 row_newbcast:11 row_mask:0xf bank_mask:0xf// 000000003924: 0A6E6EFA FF015B19
	v_mul_f32_dpp v56, v25, v56 row_newbcast:12 row_mask:0xf bank_mask:0xf// 00000000392C: 0A7070FA FF015C19
	v_mul_f32_dpp v57, v25, v57 row_newbcast:13 row_mask:0xf bank_mask:0xf// 000000003934: 0A7272FA FF015D19
	v_mul_f32_dpp v58, v25, v58 row_newbcast:14 row_mask:0xf bank_mask:0xf// 00000000393C: 0A7474FA FF015E19
	v_mul_f32_dpp v59, v25, v59 row_newbcast:15 row_mask:0xf bank_mask:0xf// 000000003944: 0A7676FA FF015F19
	v_mul_f32_dpp v60, v26, v60 row_newbcast:0 row_mask:0xf bank_mask:0xf// 00000000394C: 0A7878FA FF01501A
	v_mul_f32_dpp v61, v26, v61 row_newbcast:1 row_mask:0xf bank_mask:0xf// 000000003954: 0A7A7AFA FF01511A
	v_mul_f32_dpp v62, v26, v62 row_newbcast:2 row_mask:0xf bank_mask:0xf// 00000000395C: 0A7C7CFA FF01521A
	v_mul_f32_dpp v63, v26, v63 row_newbcast:3 row_mask:0xf bank_mask:0xf// 000000003964: 0A7E7EFA FF01531A
	v_mul_f32_dpp v64, v26, v64 row_newbcast:4 row_mask:0xf bank_mask:0xf// 00000000396C: 0A8080FA FF01541A
	v_mul_f32_dpp v65, v26, v65 row_newbcast:5 row_mask:0xf bank_mask:0xf// 000000003974: 0A8282FA FF01551A
	v_mul_f32_dpp v66, v26, v66 row_newbcast:6 row_mask:0xf bank_mask:0xf// 00000000397C: 0A8484FA FF01561A
	v_mul_f32_dpp v67, v26, v67 row_newbcast:7 row_mask:0xf bank_mask:0xf// 000000003984: 0A8686FA FF01571A
	v_mul_f32_dpp v68, v26, v68 row_newbcast:8 row_mask:0xf bank_mask:0xf// 00000000398C: 0A8888FA FF01581A
	v_mul_f32_dpp v69, v26, v69 row_newbcast:9 row_mask:0xf bank_mask:0xf// 000000003994: 0A8A8AFA FF01591A
	v_mul_f32_dpp v70, v26, v70 row_newbcast:10 row_mask:0xf bank_mask:0xf// 00000000399C: 0A8C8CFA FF015A1A
	v_mul_f32_dpp v71, v26, v71 row_newbcast:11 row_mask:0xf bank_mask:0xf// 0000000039A4: 0A8E8EFA FF015B1A
	v_mul_f32_dpp v72, v26, v72 row_newbcast:12 row_mask:0xf bank_mask:0xf// 0000000039AC: 0A9090FA FF015C1A
	v_mul_f32_dpp v73, v26, v73 row_newbcast:13 row_mask:0xf bank_mask:0xf// 0000000039B4: 0A9292FA FF015D1A
	v_mul_f32_dpp v74, v26, v74 row_newbcast:14 row_mask:0xf bank_mask:0xf// 0000000039BC: 0A9494FA FF015E1A
	v_mul_f32_dpp v75, v26, v75 row_newbcast:15 row_mask:0xf bank_mask:0xf// 0000000039C4: 0A9696FA FF015F1A
	v_mul_f32_dpp v76, v27, v76 row_newbcast:0 row_mask:0xf bank_mask:0xf// 0000000039CC: 0A9898FA FF01501B
	v_mul_f32_dpp v77, v27, v77 row_newbcast:1 row_mask:0xf bank_mask:0xf// 0000000039D4: 0A9A9AFA FF01511B
	v_mul_f32_dpp v78, v27, v78 row_newbcast:2 row_mask:0xf bank_mask:0xf// 0000000039DC: 0A9C9CFA FF01521B
	v_mul_f32_dpp v79, v27, v79 row_newbcast:3 row_mask:0xf bank_mask:0xf// 0000000039E4: 0A9E9EFA FF01531B
	v_mul_f32_dpp v80, v27, v80 row_newbcast:4 row_mask:0xf bank_mask:0xf// 0000000039EC: 0AA0A0FA FF01541B
	v_mul_f32_dpp v81, v27, v81 row_newbcast:5 row_mask:0xf bank_mask:0xf// 0000000039F4: 0AA2A2FA FF01551B
	v_mul_f32_dpp v82, v27, v82 row_newbcast:6 row_mask:0xf bank_mask:0xf// 0000000039FC: 0AA4A4FA FF01561B
	v_mul_f32_dpp v83, v27, v83 row_newbcast:7 row_mask:0xf bank_mask:0xf// 000000003A04: 0AA6A6FA FF01571B
	v_mul_f32_dpp v84, v27, v84 row_newbcast:8 row_mask:0xf bank_mask:0xf// 000000003A0C: 0AA8A8FA FF01581B
	v_mul_f32_dpp v85, v27, v85 row_newbcast:9 row_mask:0xf bank_mask:0xf// 000000003A14: 0AAAAAFA FF01591B
	v_mul_f32_dpp v86, v27, v86 row_newbcast:10 row_mask:0xf bank_mask:0xf// 000000003A1C: 0AACACFA FF015A1B
	v_mul_f32_dpp v87, v27, v87 row_newbcast:11 row_mask:0xf bank_mask:0xf// 000000003A24: 0AAEAEFA FF015B1B
	v_mul_f32_dpp v88, v27, v88 row_newbcast:12 row_mask:0xf bank_mask:0xf// 000000003A2C: 0AB0B0FA FF015C1B
	v_mul_f32_dpp v89, v27, v89 row_newbcast:13 row_mask:0xf bank_mask:0xf// 000000003A34: 0AB2B2FA FF015D1B
	v_mul_f32_dpp v90, v27, v90 row_newbcast:14 row_mask:0xf bank_mask:0xf// 000000003A3C: 0AB4B4FA FF015E1B
	v_mul_f32_dpp v91, v27, v91 row_newbcast:15 row_mask:0xf bank_mask:0xf// 000000003A44: 0AB6B6FA FF015F1B
	v_mul_f32_dpp v92, v28, v92 row_newbcast:0 row_mask:0xf bank_mask:0xf// 000000003A4C: 0AB8B8FA FF01501C
	v_mul_f32_dpp v93, v28, v93 row_newbcast:1 row_mask:0xf bank_mask:0xf// 000000003A54: 0ABABAFA FF01511C
	v_mul_f32_dpp v94, v28, v94 row_newbcast:2 row_mask:0xf bank_mask:0xf// 000000003A5C: 0ABCBCFA FF01521C
	v_mul_f32_dpp v95, v28, v95 row_newbcast:3 row_mask:0xf bank_mask:0xf// 000000003A64: 0ABEBEFA FF01531C
	v_mul_f32_dpp v96, v28, v96 row_newbcast:4 row_mask:0xf bank_mask:0xf// 000000003A6C: 0AC0C0FA FF01541C
	v_mul_f32_dpp v97, v28, v97 row_newbcast:5 row_mask:0xf bank_mask:0xf// 000000003A74: 0AC2C2FA FF01551C
	v_mul_f32_dpp v98, v28, v98 row_newbcast:6 row_mask:0xf bank_mask:0xf// 000000003A7C: 0AC4C4FA FF01561C
	v_mul_f32_dpp v99, v28, v99 row_newbcast:7 row_mask:0xf bank_mask:0xf// 000000003A84: 0AC6C6FA FF01571C
	v_mul_f32_dpp v100, v28, v100 row_newbcast:8 row_mask:0xf bank_mask:0xf// 000000003A8C: 0AC8C8FA FF01581C
	v_mul_f32_dpp v101, v28, v101 row_newbcast:9 row_mask:0xf bank_mask:0xf// 000000003A94: 0ACACAFA FF01591C
	v_mul_f32_dpp v102, v28, v102 row_newbcast:10 row_mask:0xf bank_mask:0xf// 000000003A9C: 0ACCCCFA FF015A1C
	v_mul_f32_dpp v103, v28, v103 row_newbcast:11 row_mask:0xf bank_mask:0xf// 000000003AA4: 0ACECEFA FF015B1C
	v_mul_f32_dpp v104, v28, v104 row_newbcast:12 row_mask:0xf bank_mask:0xf// 000000003AAC: 0AD0D0FA FF015C1C
	v_mul_f32_dpp v105, v28, v105 row_newbcast:13 row_mask:0xf bank_mask:0xf// 000000003AB4: 0AD2D2FA FF015D1C
	v_mul_f32_dpp v106, v28, v106 row_newbcast:14 row_mask:0xf bank_mask:0xf// 000000003ABC: 0AD4D4FA FF015E1C
	v_mul_f32_dpp v107, v28, v107 row_newbcast:15 row_mask:0xf bank_mask:0xf// 000000003AC4: 0AD6D6FA FF015F1C
	v_mul_f32_e32 v30, v30, v108                               // 000000003ACC: 0A3CD91E
	v_mov_b32_e32 v4, v30                                      // 000000003AD0: 7E08031E
	v_mov_b32_e32 v5, v4                                       // 000000003AD4: 7E0A0304
	v_pk_mul_f32 v[44:45], v[4:5], v[44:45]                    // 000000003AD8: D3B1402C 18025904
	v_pk_mul_f32 v[76:77], v[4:5], v[76:77]                    // 000000003AE0: D3B1404C 18029904
	v_pk_mul_f32 v[46:47], v[4:5], v[46:47]                    // 000000003AE8: D3B1402E 18025D04
	v_pk_mul_f32 v[78:79], v[4:5], v[78:79]                    // 000000003AF0: D3B1404E 18029D04
	v_pk_mul_f32 v[48:49], v[4:5], v[48:49]                    // 000000003AF8: D3B14030 18026104
	v_pk_mul_f32 v[80:81], v[4:5], v[80:81]                    // 000000003B00: D3B14050 1802A104
	v_pk_mul_f32 v[50:51], v[4:5], v[50:51]                    // 000000003B08: D3B14032 18026504
	v_pk_mul_f32 v[82:83], v[4:5], v[82:83]                    // 000000003B10: D3B14052 1802A504
	v_pk_mul_f32 v[52:53], v[4:5], v[52:53]                    // 000000003B18: D3B14034 18026904
	v_pk_mul_f32 v[84:85], v[4:5], v[84:85]                    // 000000003B20: D3B14054 1802A904
	v_pk_mul_f32 v[54:55], v[4:5], v[54:55]                    // 000000003B28: D3B14036 18026D04
	v_pk_mul_f32 v[86:87], v[4:5], v[86:87]                    // 000000003B30: D3B14056 1802AD04
	v_pk_mul_f32 v[56:57], v[4:5], v[56:57]                    // 000000003B38: D3B14038 18027104
	v_pk_mul_f32 v[88:89], v[4:5], v[88:89]                    // 000000003B40: D3B14058 1802B104
	v_pk_mul_f32 v[58:59], v[4:5], v[58:59]                    // 000000003B48: D3B1403A 18027504
	v_pk_mul_f32 v[90:91], v[4:5], v[90:91]                    // 000000003B50: D3B1405A 1802B504
	v_pk_mul_f32 v[60:61], v[4:5], v[60:61]                    // 000000003B58: D3B1403C 18027904
	v_pk_mul_f32 v[92:93], v[4:5], v[92:93]                    // 000000003B60: D3B1405C 1802B904
	v_pk_mul_f32 v[62:63], v[4:5], v[62:63]                    // 000000003B68: D3B1403E 18027D04
	v_pk_mul_f32 v[94:95], v[4:5], v[94:95]                    // 000000003B70: D3B1405E 1802BD04
	v_pk_mul_f32 v[64:65], v[4:5], v[64:65]                    // 000000003B78: D3B14040 18028104
	v_pk_mul_f32 v[96:97], v[4:5], v[96:97]                    // 000000003B80: D3B14060 1802C104
	v_pk_mul_f32 v[66:67], v[4:5], v[66:67]                    // 000000003B88: D3B14042 18028504
	v_pk_mul_f32 v[98:99], v[4:5], v[98:99]                    // 000000003B90: D3B14062 1802C504
	v_pk_mul_f32 v[68:69], v[4:5], v[68:69]                    // 000000003B98: D3B14044 18028904
	v_pk_mul_f32 v[100:101], v[4:5], v[100:101]                // 000000003BA0: D3B14064 1802C904
	v_pk_mul_f32 v[70:71], v[4:5], v[70:71]                    // 000000003BA8: D3B14046 18028D04
	v_pk_mul_f32 v[102:103], v[4:5], v[102:103]                // 000000003BB0: D3B14066 1802CD04
	v_pk_mul_f32 v[72:73], v[4:5], v[72:73]                    // 000000003BB8: D3B14048 18029104
	v_pk_mul_f32 v[104:105], v[4:5], v[104:105]                // 000000003BC0: D3B14068 1802D104
	v_pk_mul_f32 v[74:75], v[4:5], v[74:75]                    // 000000003BC8: D3B1404A 18029504
	v_pk_mul_f32 v[106:107], v[4:5], v[106:107]                // 000000003BD0: D3B1406A 1802D504
	s_cmp_eq_u32 s88, 0                                        // 000000003BD8: BF068058
	s_cbranch_scc0 label_0855                                  // 000000003BDC: BF8403DD
	s_cmp_eq_u32 s89, 0                                        // 000000003BE0: BF068059
	s_cbranch_scc1 label_05BF                                  // 000000003BE4: BF850145
	v_mov_b32_e32 v8, v1                                       // 000000003BE8: 7E100301
	v_mov_b32_e32 v9, v1                                       // 000000003BEC: 7E120301
	s_mov_b32 s60, s6                                          // 000000003BF0: BEBC0006
	s_mov_b32 s61, s6                                          // 000000003BF4: BEBD0006
	v_pk_mul_f32 v[4:5], v[44:45], v[44:45]                    // 000000003BF8: D3B14004 1802592C
	v_pk_mul_f32 v[6:7], v[46:47], v[46:47]                    // 000000003C00: D3B14006 18025D2E
	v_pk_fma_f32 v[4:5], v[4:5], s[78:79], v[8:9]              // 000000003C08: D3B04004 1C209D04
	v_pk_fma_f32 v[6:7], v[6:7], s[78:79], v[8:9]              // 000000003C10: D3B04006 1C209D06
	v_pk_mul_f32 v[4:5], v[4:5], v[44:45]                      // 000000003C18: D3B14004 18025904
	v_pk_mul_f32 v[6:7], v[6:7], v[46:47]                      // 000000003C20: D3B14006 18025D06
	v_pk_mul_f32 v[4:5], v[4:5], s[60:61]                      // 000000003C28: D3B14004 18007904
	v_pk_mul_f32 v[6:7], v[6:7], s[60:61]                      // 000000003C30: D3B14006 18007906
	v_exp_f32_e32 v4, v4                                       // 000000003C38: 7E084104
	v_exp_f32_e32 v5, v5                                       // 000000003C3C: 7E0A4105
	v_exp_f32_e32 v6, v6                                       // 000000003C40: 7E0C4106
	v_exp_f32_e32 v7, v7                                       // 000000003C44: 7E0E4107
	v_add_f32_e64 v4, v4, 1.0                                  // 000000003C48: D1010004 0001E504
	v_add_f32_e64 v5, v5, 1.0                                  // 000000003C50: D1010005 0001E505
	v_add_f32_e64 v6, v6, 1.0                                  // 000000003C58: D1010006 0001E506
	v_add_f32_e64 v7, v7, 1.0                                  // 000000003C60: D1010007 0001E507
	v_rcp_f32_e32 v4, v4                                       // 000000003C68: 7E084504
	v_rcp_f32_e32 v5, v5                                       // 000000003C6C: 7E0A4505
	v_rcp_f32_e32 v6, v6                                       // 000000003C70: 7E0C4506
	v_rcp_f32_e32 v7, v7                                       // 000000003C74: 7E0E4507
	v_mul_f32_e32 v44, v44, v4                                 // 000000003C78: 0A58092C
	v_mul_f32_e32 v45, v45, v5                                 // 000000003C7C: 0A5A0B2D
	v_mul_f32_e32 v46, v46, v6                                 // 000000003C80: 0A5C0D2E
	v_mul_f32_e32 v47, v47, v7                                 // 000000003C84: 0A5E0F2F
	v_mul_f32_e32 v44, v44, v76                                // 000000003C88: 0A58992C
	v_mul_f32_e32 v45, v45, v77                                // 000000003C8C: 0A5A9B2D
	v_mul_f32_e32 v46, v46, v78                                // 000000003C90: 0A5C9D2E
	v_mul_f32_e32 v47, v47, v79                                // 000000003C94: 0A5E9F2F
	v_pk_mul_f32 v[4:5], v[48:49], v[48:49]                    // 000000003C98: D3B14004 18026130
	v_pk_mul_f32 v[6:7], v[50:51], v[50:51]                    // 000000003CA0: D3B14006 18026532
	v_pk_fma_f32 v[4:5], v[4:5], s[78:79], v[8:9]              // 000000003CA8: D3B04004 1C209D04
	v_pk_fma_f32 v[6:7], v[6:7], s[78:79], v[8:9]              // 000000003CB0: D3B04006 1C209D06
	v_pk_mul_f32 v[4:5], v[4:5], v[48:49]                      // 000000003CB8: D3B14004 18026104
	v_pk_mul_f32 v[6:7], v[6:7], v[50:51]                      // 000000003CC0: D3B14006 18026506
	v_pk_mul_f32 v[4:5], v[4:5], s[60:61]                      // 000000003CC8: D3B14004 18007904
	v_pk_mul_f32 v[6:7], v[6:7], s[60:61]                      // 000000003CD0: D3B14006 18007906
	v_exp_f32_e32 v4, v4                                       // 000000003CD8: 7E084104
	v_exp_f32_e32 v5, v5                                       // 000000003CDC: 7E0A4105
	v_exp_f32_e32 v6, v6                                       // 000000003CE0: 7E0C4106
	v_exp_f32_e32 v7, v7                                       // 000000003CE4: 7E0E4107
	v_add_f32_e64 v4, v4, 1.0                                  // 000000003CE8: D1010004 0001E504
	v_add_f32_e64 v5, v5, 1.0                                  // 000000003CF0: D1010005 0001E505
	v_add_f32_e64 v6, v6, 1.0                                  // 000000003CF8: D1010006 0001E506
	v_add_f32_e64 v7, v7, 1.0                                  // 000000003D00: D1010007 0001E507
	v_rcp_f32_e32 v4, v4                                       // 000000003D08: 7E084504
	v_rcp_f32_e32 v5, v5                                       // 000000003D0C: 7E0A4505
	v_rcp_f32_e32 v6, v6                                       // 000000003D10: 7E0C4506
	v_rcp_f32_e32 v7, v7                                       // 000000003D14: 7E0E4507
	v_mul_f32_e32 v48, v48, v4                                 // 000000003D18: 0A600930
	v_mul_f32_e32 v49, v49, v5                                 // 000000003D1C: 0A620B31
	v_mul_f32_e32 v50, v50, v6                                 // 000000003D20: 0A640D32
	v_mul_f32_e32 v51, v51, v7                                 // 000000003D24: 0A660F33
	v_mul_f32_e32 v48, v48, v80                                // 000000003D28: 0A60A130
	v_mul_f32_e32 v49, v49, v81                                // 000000003D2C: 0A62A331
	v_mul_f32_e32 v50, v50, v82                                // 000000003D30: 0A64A532
	v_mul_f32_e32 v51, v51, v83                                // 000000003D34: 0A66A733
	v_pk_mul_f32 v[4:5], v[52:53], v[52:53]                    // 000000003D38: D3B14004 18026934
	v_pk_mul_f32 v[6:7], v[54:55], v[54:55]                    // 000000003D40: D3B14006 18026D36
	v_pk_fma_f32 v[4:5], v[4:5], s[78:79], v[8:9]              // 000000003D48: D3B04004 1C209D04
	v_pk_fma_f32 v[6:7], v[6:7], s[78:79], v[8:9]              // 000000003D50: D3B04006 1C209D06
	v_pk_mul_f32 v[4:5], v[4:5], v[52:53]                      // 000000003D58: D3B14004 18026904
	v_pk_mul_f32 v[6:7], v[6:7], v[54:55]                      // 000000003D60: D3B14006 18026D06
	v_pk_mul_f32 v[4:5], v[4:5], s[60:61]                      // 000000003D68: D3B14004 18007904
	v_pk_mul_f32 v[6:7], v[6:7], s[60:61]                      // 000000003D70: D3B14006 18007906
	v_exp_f32_e32 v4, v4                                       // 000000003D78: 7E084104
	v_exp_f32_e32 v5, v5                                       // 000000003D7C: 7E0A4105
	v_exp_f32_e32 v6, v6                                       // 000000003D80: 7E0C4106
	v_exp_f32_e32 v7, v7                                       // 000000003D84: 7E0E4107
	v_add_f32_e64 v4, v4, 1.0                                  // 000000003D88: D1010004 0001E504
	v_add_f32_e64 v5, v5, 1.0                                  // 000000003D90: D1010005 0001E505
	v_add_f32_e64 v6, v6, 1.0                                  // 000000003D98: D1010006 0001E506
	v_add_f32_e64 v7, v7, 1.0                                  // 000000003DA0: D1010007 0001E507
	v_rcp_f32_e32 v4, v4                                       // 000000003DA8: 7E084504
	v_rcp_f32_e32 v5, v5                                       // 000000003DAC: 7E0A4505
	v_rcp_f32_e32 v6, v6                                       // 000000003DB0: 7E0C4506
	v_rcp_f32_e32 v7, v7                                       // 000000003DB4: 7E0E4507
	v_mul_f32_e32 v52, v52, v4                                 // 000000003DB8: 0A680934
	v_mul_f32_e32 v53, v53, v5                                 // 000000003DBC: 0A6A0B35
	v_mul_f32_e32 v54, v54, v6                                 // 000000003DC0: 0A6C0D36
	v_mul_f32_e32 v55, v55, v7                                 // 000000003DC4: 0A6E0F37
	v_mul_f32_e32 v52, v52, v84                                // 000000003DC8: 0A68A934
	v_mul_f32_e32 v53, v53, v85                                // 000000003DCC: 0A6AAB35
	v_mul_f32_e32 v54, v54, v86                                // 000000003DD0: 0A6CAD36
	v_mul_f32_e32 v55, v55, v87                                // 000000003DD4: 0A6EAF37
	v_pk_mul_f32 v[4:5], v[56:57], v[56:57]                    // 000000003DD8: D3B14004 18027138
	v_pk_mul_f32 v[6:7], v[58:59], v[58:59]                    // 000000003DE0: D3B14006 1802753A
	v_pk_fma_f32 v[4:5], v[4:5], s[78:79], v[8:9]              // 000000003DE8: D3B04004 1C209D04
	v_pk_fma_f32 v[6:7], v[6:7], s[78:79], v[8:9]              // 000000003DF0: D3B04006 1C209D06
	v_pk_mul_f32 v[4:5], v[4:5], v[56:57]                      // 000000003DF8: D3B14004 18027104
	v_pk_mul_f32 v[6:7], v[6:7], v[58:59]                      // 000000003E00: D3B14006 18027506
	v_pk_mul_f32 v[4:5], v[4:5], s[60:61]                      // 000000003E08: D3B14004 18007904
	v_pk_mul_f32 v[6:7], v[6:7], s[60:61]                      // 000000003E10: D3B14006 18007906
	v_exp_f32_e32 v4, v4                                       // 000000003E18: 7E084104
	v_exp_f32_e32 v5, v5                                       // 000000003E1C: 7E0A4105
	v_exp_f32_e32 v6, v6                                       // 000000003E20: 7E0C4106
	v_exp_f32_e32 v7, v7                                       // 000000003E24: 7E0E4107
	v_add_f32_e64 v4, v4, 1.0                                  // 000000003E28: D1010004 0001E504
	v_add_f32_e64 v5, v5, 1.0                                  // 000000003E30: D1010005 0001E505
	v_add_f32_e64 v6, v6, 1.0                                  // 000000003E38: D1010006 0001E506
	v_add_f32_e64 v7, v7, 1.0                                  // 000000003E40: D1010007 0001E507
	v_rcp_f32_e32 v4, v4                                       // 000000003E48: 7E084504
	v_rcp_f32_e32 v5, v5                                       // 000000003E4C: 7E0A4505
	v_rcp_f32_e32 v6, v6                                       // 000000003E50: 7E0C4506
	v_rcp_f32_e32 v7, v7                                       // 000000003E54: 7E0E4507
	v_mul_f32_e32 v56, v56, v4                                 // 000000003E58: 0A700938
	v_mul_f32_e32 v57, v57, v5                                 // 000000003E5C: 0A720B39
	v_mul_f32_e32 v58, v58, v6                                 // 000000003E60: 0A740D3A
	v_mul_f32_e32 v59, v59, v7                                 // 000000003E64: 0A760F3B
	v_mul_f32_e32 v56, v56, v88                                // 000000003E68: 0A70B138
	v_mul_f32_e32 v57, v57, v89                                // 000000003E6C: 0A72B339
	v_mul_f32_e32 v58, v58, v90                                // 000000003E70: 0A74B53A
	v_mul_f32_e32 v59, v59, v91                                // 000000003E74: 0A76B73B
	v_pk_mul_f32 v[4:5], v[60:61], v[60:61]                    // 000000003E78: D3B14004 1802793C
	v_pk_mul_f32 v[6:7], v[62:63], v[62:63]                    // 000000003E80: D3B14006 18027D3E
	v_pk_fma_f32 v[4:5], v[4:5], s[78:79], v[8:9]              // 000000003E88: D3B04004 1C209D04
	v_pk_fma_f32 v[6:7], v[6:7], s[78:79], v[8:9]              // 000000003E90: D3B04006 1C209D06
	v_pk_mul_f32 v[4:5], v[4:5], v[60:61]                      // 000000003E98: D3B14004 18027904
	v_pk_mul_f32 v[6:7], v[6:7], v[62:63]                      // 000000003EA0: D3B14006 18027D06
	v_pk_mul_f32 v[4:5], v[4:5], s[60:61]                      // 000000003EA8: D3B14004 18007904
	v_pk_mul_f32 v[6:7], v[6:7], s[60:61]                      // 000000003EB0: D3B14006 18007906
	v_exp_f32_e32 v4, v4                                       // 000000003EB8: 7E084104
	v_exp_f32_e32 v5, v5                                       // 000000003EBC: 7E0A4105
	v_exp_f32_e32 v6, v6                                       // 000000003EC0: 7E0C4106
	v_exp_f32_e32 v7, v7                                       // 000000003EC4: 7E0E4107
	v_add_f32_e64 v4, v4, 1.0                                  // 000000003EC8: D1010004 0001E504
	v_add_f32_e64 v5, v5, 1.0                                  // 000000003ED0: D1010005 0001E505
	v_add_f32_e64 v6, v6, 1.0                                  // 000000003ED8: D1010006 0001E506
	v_add_f32_e64 v7, v7, 1.0                                  // 000000003EE0: D1010007 0001E507
	v_rcp_f32_e32 v4, v4                                       // 000000003EE8: 7E084504
	v_rcp_f32_e32 v5, v5                                       // 000000003EEC: 7E0A4505
	v_rcp_f32_e32 v6, v6                                       // 000000003EF0: 7E0C4506
	v_rcp_f32_e32 v7, v7                                       // 000000003EF4: 7E0E4507
	v_mul_f32_e32 v60, v60, v4                                 // 000000003EF8: 0A78093C
	v_mul_f32_e32 v61, v61, v5                                 // 000000003EFC: 0A7A0B3D
	v_mul_f32_e32 v62, v62, v6                                 // 000000003F00: 0A7C0D3E
	v_mul_f32_e32 v63, v63, v7                                 // 000000003F04: 0A7E0F3F
	v_mul_f32_e32 v60, v60, v92                                // 000000003F08: 0A78B93C
	v_mul_f32_e32 v61, v61, v93                                // 000000003F0C: 0A7ABB3D
	v_mul_f32_e32 v62, v62, v94                                // 000000003F10: 0A7CBD3E
	v_mul_f32_e32 v63, v63, v95                                // 000000003F14: 0A7EBF3F
	v_pk_mul_f32 v[4:5], v[64:65], v[64:65]                    // 000000003F18: D3B14004 18028140
	v_pk_mul_f32 v[6:7], v[66:67], v[66:67]                    // 000000003F20: D3B14006 18028542
	v_pk_fma_f32 v[4:5], v[4:5], s[78:79], v[8:9]              // 000000003F28: D3B04004 1C209D04
	v_pk_fma_f32 v[6:7], v[6:7], s[78:79], v[8:9]              // 000000003F30: D3B04006 1C209D06
	v_pk_mul_f32 v[4:5], v[4:5], v[64:65]                      // 000000003F38: D3B14004 18028104
	v_pk_mul_f32 v[6:7], v[6:7], v[66:67]                      // 000000003F40: D3B14006 18028506
	v_pk_mul_f32 v[4:5], v[4:5], s[60:61]                      // 000000003F48: D3B14004 18007904
	v_pk_mul_f32 v[6:7], v[6:7], s[60:61]                      // 000000003F50: D3B14006 18007906
	v_exp_f32_e32 v4, v4                                       // 000000003F58: 7E084104
	v_exp_f32_e32 v5, v5                                       // 000000003F5C: 7E0A4105
	v_exp_f32_e32 v6, v6                                       // 000000003F60: 7E0C4106
	v_exp_f32_e32 v7, v7                                       // 000000003F64: 7E0E4107
	v_add_f32_e64 v4, v4, 1.0                                  // 000000003F68: D1010004 0001E504
	v_add_f32_e64 v5, v5, 1.0                                  // 000000003F70: D1010005 0001E505
	v_add_f32_e64 v6, v6, 1.0                                  // 000000003F78: D1010006 0001E506
	v_add_f32_e64 v7, v7, 1.0                                  // 000000003F80: D1010007 0001E507
	v_rcp_f32_e32 v4, v4                                       // 000000003F88: 7E084504
	v_rcp_f32_e32 v5, v5                                       // 000000003F8C: 7E0A4505
	v_rcp_f32_e32 v6, v6                                       // 000000003F90: 7E0C4506
	v_rcp_f32_e32 v7, v7                                       // 000000003F94: 7E0E4507
	v_mul_f32_e32 v64, v64, v4                                 // 000000003F98: 0A800940
	v_mul_f32_e32 v65, v65, v5                                 // 000000003F9C: 0A820B41
	v_mul_f32_e32 v66, v66, v6                                 // 000000003FA0: 0A840D42
	v_mul_f32_e32 v67, v67, v7                                 // 000000003FA4: 0A860F43
	v_mul_f32_e32 v64, v64, v96                                // 000000003FA8: 0A80C140
	v_mul_f32_e32 v65, v65, v97                                // 000000003FAC: 0A82C341
	v_mul_f32_e32 v66, v66, v98                                // 000000003FB0: 0A84C542
	v_mul_f32_e32 v67, v67, v99                                // 000000003FB4: 0A86C743
	v_pk_mul_f32 v[4:5], v[68:69], v[68:69]                    // 000000003FB8: D3B14004 18028944
	v_pk_mul_f32 v[6:7], v[70:71], v[70:71]                    // 000000003FC0: D3B14006 18028D46
	v_pk_fma_f32 v[4:5], v[4:5], s[78:79], v[8:9]              // 000000003FC8: D3B04004 1C209D04
	v_pk_fma_f32 v[6:7], v[6:7], s[78:79], v[8:9]              // 000000003FD0: D3B04006 1C209D06
	v_pk_mul_f32 v[4:5], v[4:5], v[68:69]                      // 000000003FD8: D3B14004 18028904
	v_pk_mul_f32 v[6:7], v[6:7], v[70:71]                      // 000000003FE0: D3B14006 18028D06
	v_pk_mul_f32 v[4:5], v[4:5], s[60:61]                      // 000000003FE8: D3B14004 18007904
	v_pk_mul_f32 v[6:7], v[6:7], s[60:61]                      // 000000003FF0: D3B14006 18007906
	v_exp_f32_e32 v4, v4                                       // 000000003FF8: 7E084104
	v_exp_f32_e32 v5, v5                                       // 000000003FFC: 7E0A4105
	v_exp_f32_e32 v6, v6                                       // 000000004000: 7E0C4106
	v_exp_f32_e32 v7, v7                                       // 000000004004: 7E0E4107
	v_add_f32_e64 v4, v4, 1.0                                  // 000000004008: D1010004 0001E504
	v_add_f32_e64 v5, v5, 1.0                                  // 000000004010: D1010005 0001E505
	v_add_f32_e64 v6, v6, 1.0                                  // 000000004018: D1010006 0001E506
	v_add_f32_e64 v7, v7, 1.0                                  // 000000004020: D1010007 0001E507
	v_rcp_f32_e32 v4, v4                                       // 000000004028: 7E084504
	v_rcp_f32_e32 v5, v5                                       // 00000000402C: 7E0A4505
	v_rcp_f32_e32 v6, v6                                       // 000000004030: 7E0C4506
	v_rcp_f32_e32 v7, v7                                       // 000000004034: 7E0E4507
	v_mul_f32_e32 v68, v68, v4                                 // 000000004038: 0A880944
	v_mul_f32_e32 v69, v69, v5                                 // 00000000403C: 0A8A0B45
	v_mul_f32_e32 v70, v70, v6                                 // 000000004040: 0A8C0D46
	v_mul_f32_e32 v71, v71, v7                                 // 000000004044: 0A8E0F47
	v_mul_f32_e32 v68, v68, v100                               // 000000004048: 0A88C944
	v_mul_f32_e32 v69, v69, v101                               // 00000000404C: 0A8ACB45
	v_mul_f32_e32 v70, v70, v102                               // 000000004050: 0A8CCD46
	v_mul_f32_e32 v71, v71, v103                               // 000000004054: 0A8ECF47
	v_pk_mul_f32 v[4:5], v[72:73], v[72:73]                    // 000000004058: D3B14004 18029148
	v_pk_mul_f32 v[6:7], v[74:75], v[74:75]                    // 000000004060: D3B14006 1802954A
	v_pk_fma_f32 v[4:5], v[4:5], s[78:79], v[8:9]              // 000000004068: D3B04004 1C209D04
	v_pk_fma_f32 v[6:7], v[6:7], s[78:79], v[8:9]              // 000000004070: D3B04006 1C209D06
	v_pk_mul_f32 v[4:5], v[4:5], v[72:73]                      // 000000004078: D3B14004 18029104
	v_pk_mul_f32 v[6:7], v[6:7], v[74:75]                      // 000000004080: D3B14006 18029506
	v_pk_mul_f32 v[4:5], v[4:5], s[60:61]                      // 000000004088: D3B14004 18007904
	v_pk_mul_f32 v[6:7], v[6:7], s[60:61]                      // 000000004090: D3B14006 18007906
	v_exp_f32_e32 v4, v4                                       // 000000004098: 7E084104
	v_exp_f32_e32 v5, v5                                       // 00000000409C: 7E0A4105
	v_exp_f32_e32 v6, v6                                       // 0000000040A0: 7E0C4106
	v_exp_f32_e32 v7, v7                                       // 0000000040A4: 7E0E4107
	v_add_f32_e64 v4, v4, 1.0                                  // 0000000040A8: D1010004 0001E504
	v_add_f32_e64 v5, v5, 1.0                                  // 0000000040B0: D1010005 0001E505
	v_add_f32_e64 v6, v6, 1.0                                  // 0000000040B8: D1010006 0001E506
	v_add_f32_e64 v7, v7, 1.0                                  // 0000000040C0: D1010007 0001E507
	v_rcp_f32_e32 v4, v4                                       // 0000000040C8: 7E084504
	v_rcp_f32_e32 v5, v5                                       // 0000000040CC: 7E0A4505
	v_rcp_f32_e32 v6, v6                                       // 0000000040D0: 7E0C4506
	v_rcp_f32_e32 v7, v7                                       // 0000000040D4: 7E0E4507
	v_mul_f32_e32 v72, v72, v4                                 // 0000000040D8: 0A900948
	v_mul_f32_e32 v73, v73, v5                                 // 0000000040DC: 0A920B49
	v_mul_f32_e32 v74, v74, v6                                 // 0000000040E0: 0A940D4A
	v_mul_f32_e32 v75, v75, v7                                 // 0000000040E4: 0A960F4B
	v_mul_f32_e32 v72, v72, v104                               // 0000000040E8: 0A90D148
	v_mul_f32_e32 v73, v73, v105                               // 0000000040EC: 0A92D349
	v_mul_f32_e32 v74, v74, v106                               // 0000000040F0: 0A94D54A
	v_mul_f32_e32 v75, v75, v107                               // 0000000040F4: 0A96D74B
	s_branch label_06BF                                        // 0000000040F8: BF820100

00000000000040fc <label_05BF>:
	v_mul_f32_e64 v4, -v44, s6                                 // 0000000040FC: D1050004 20000D2C
	v_mul_f32_e64 v5, -v45, s6                                 // 000000004104: D1050005 20000D2D
	v_mul_f32_e64 v6, -v46, s6                                 // 00000000410C: D1050006 20000D2E
	v_mul_f32_e64 v7, -v47, s6                                 // 000000004114: D1050007 20000D2F
	v_exp_f32_e32 v4, v4                                       // 00000000411C: 7E084104
	v_exp_f32_e32 v5, v5                                       // 000000004120: 7E0A4105
	v_exp_f32_e32 v6, v6                                       // 000000004124: 7E0C4106
	v_exp_f32_e32 v7, v7                                       // 000000004128: 7E0E4107
	v_add_f32_e64 v4, v4, 1.0                                  // 00000000412C: D1010004 0001E504
	v_add_f32_e64 v5, v5, 1.0                                  // 000000004134: D1010005 0001E505
	v_add_f32_e64 v6, v6, 1.0                                  // 00000000413C: D1010006 0001E506
	v_add_f32_e64 v7, v7, 1.0                                  // 000000004144: D1010007 0001E507
	v_rcp_f32_e32 v4, v4                                       // 00000000414C: 7E084504
	v_rcp_f32_e32 v5, v5                                       // 000000004150: 7E0A4505
	v_rcp_f32_e32 v6, v6                                       // 000000004154: 7E0C4506
	v_rcp_f32_e32 v7, v7                                       // 000000004158: 7E0E4507
	v_mul_f32_e32 v44, v44, v4                                 // 00000000415C: 0A58092C
	v_mul_f32_e32 v45, v45, v5                                 // 000000004160: 0A5A0B2D
	v_mul_f32_e32 v46, v46, v6                                 // 000000004164: 0A5C0D2E
	v_mul_f32_e32 v47, v47, v7                                 // 000000004168: 0A5E0F2F
	v_mul_f32_e32 v44, v44, v76                                // 00000000416C: 0A58992C
	v_mul_f32_e32 v45, v45, v77                                // 000000004170: 0A5A9B2D
	v_mul_f32_e32 v46, v46, v78                                // 000000004174: 0A5C9D2E
	v_mul_f32_e32 v47, v47, v79                                // 000000004178: 0A5E9F2F
	v_mul_f32_e64 v4, -v48, s6                                 // 00000000417C: D1050004 20000D30
	v_mul_f32_e64 v5, -v49, s6                                 // 000000004184: D1050005 20000D31
	v_mul_f32_e64 v6, -v50, s6                                 // 00000000418C: D1050006 20000D32
	v_mul_f32_e64 v7, -v51, s6                                 // 000000004194: D1050007 20000D33
	v_exp_f32_e32 v4, v4                                       // 00000000419C: 7E084104
	v_exp_f32_e32 v5, v5                                       // 0000000041A0: 7E0A4105
	v_exp_f32_e32 v6, v6                                       // 0000000041A4: 7E0C4106
	v_exp_f32_e32 v7, v7                                       // 0000000041A8: 7E0E4107
	v_add_f32_e64 v4, v4, 1.0                                  // 0000000041AC: D1010004 0001E504
	v_add_f32_e64 v5, v5, 1.0                                  // 0000000041B4: D1010005 0001E505
	v_add_f32_e64 v6, v6, 1.0                                  // 0000000041BC: D1010006 0001E506
	v_add_f32_e64 v7, v7, 1.0                                  // 0000000041C4: D1010007 0001E507
	v_rcp_f32_e32 v4, v4                                       // 0000000041CC: 7E084504
	v_rcp_f32_e32 v5, v5                                       // 0000000041D0: 7E0A4505
	v_rcp_f32_e32 v6, v6                                       // 0000000041D4: 7E0C4506
	v_rcp_f32_e32 v7, v7                                       // 0000000041D8: 7E0E4507
	v_mul_f32_e32 v48, v48, v4                                 // 0000000041DC: 0A600930
	v_mul_f32_e32 v49, v49, v5                                 // 0000000041E0: 0A620B31
	v_mul_f32_e32 v50, v50, v6                                 // 0000000041E4: 0A640D32
	v_mul_f32_e32 v51, v51, v7                                 // 0000000041E8: 0A660F33
	v_mul_f32_e32 v48, v48, v80                                // 0000000041EC: 0A60A130
	v_mul_f32_e32 v49, v49, v81                                // 0000000041F0: 0A62A331
	v_mul_f32_e32 v50, v50, v82                                // 0000000041F4: 0A64A532
	v_mul_f32_e32 v51, v51, v83                                // 0000000041F8: 0A66A733
	v_mul_f32_e64 v4, -v52, s6                                 // 0000000041FC: D1050004 20000D34
	v_mul_f32_e64 v5, -v53, s6                                 // 000000004204: D1050005 20000D35
	v_mul_f32_e64 v6, -v54, s6                                 // 00000000420C: D1050006 20000D36
	v_mul_f32_e64 v7, -v55, s6                                 // 000000004214: D1050007 20000D37
	v_exp_f32_e32 v4, v4                                       // 00000000421C: 7E084104
	v_exp_f32_e32 v5, v5                                       // 000000004220: 7E0A4105
	v_exp_f32_e32 v6, v6                                       // 000000004224: 7E0C4106
	v_exp_f32_e32 v7, v7                                       // 000000004228: 7E0E4107
	v_add_f32_e64 v4, v4, 1.0                                  // 00000000422C: D1010004 0001E504
	v_add_f32_e64 v5, v5, 1.0                                  // 000000004234: D1010005 0001E505
	v_add_f32_e64 v6, v6, 1.0                                  // 00000000423C: D1010006 0001E506
	v_add_f32_e64 v7, v7, 1.0                                  // 000000004244: D1010007 0001E507
	v_rcp_f32_e32 v4, v4                                       // 00000000424C: 7E084504
	v_rcp_f32_e32 v5, v5                                       // 000000004250: 7E0A4505
	v_rcp_f32_e32 v6, v6                                       // 000000004254: 7E0C4506
	v_rcp_f32_e32 v7, v7                                       // 000000004258: 7E0E4507
	v_mul_f32_e32 v52, v52, v4                                 // 00000000425C: 0A680934
	v_mul_f32_e32 v53, v53, v5                                 // 000000004260: 0A6A0B35
	v_mul_f32_e32 v54, v54, v6                                 // 000000004264: 0A6C0D36
	v_mul_f32_e32 v55, v55, v7                                 // 000000004268: 0A6E0F37
	v_mul_f32_e32 v52, v52, v84                                // 00000000426C: 0A68A934
	v_mul_f32_e32 v53, v53, v85                                // 000000004270: 0A6AAB35
	v_mul_f32_e32 v54, v54, v86                                // 000000004274: 0A6CAD36
	v_mul_f32_e32 v55, v55, v87                                // 000000004278: 0A6EAF37
	v_mul_f32_e64 v4, -v56, s6                                 // 00000000427C: D1050004 20000D38
	v_mul_f32_e64 v5, -v57, s6                                 // 000000004284: D1050005 20000D39
	v_mul_f32_e64 v6, -v58, s6                                 // 00000000428C: D1050006 20000D3A
	v_mul_f32_e64 v7, -v59, s6                                 // 000000004294: D1050007 20000D3B
	v_exp_f32_e32 v4, v4                                       // 00000000429C: 7E084104
	v_exp_f32_e32 v5, v5                                       // 0000000042A0: 7E0A4105
	v_exp_f32_e32 v6, v6                                       // 0000000042A4: 7E0C4106
	v_exp_f32_e32 v7, v7                                       // 0000000042A8: 7E0E4107
	v_add_f32_e64 v4, v4, 1.0                                  // 0000000042AC: D1010004 0001E504
	v_add_f32_e64 v5, v5, 1.0                                  // 0000000042B4: D1010005 0001E505
	v_add_f32_e64 v6, v6, 1.0                                  // 0000000042BC: D1010006 0001E506
	v_add_f32_e64 v7, v7, 1.0                                  // 0000000042C4: D1010007 0001E507
	v_rcp_f32_e32 v4, v4                                       // 0000000042CC: 7E084504
	v_rcp_f32_e32 v5, v5                                       // 0000000042D0: 7E0A4505
	v_rcp_f32_e32 v6, v6                                       // 0000000042D4: 7E0C4506
	v_rcp_f32_e32 v7, v7                                       // 0000000042D8: 7E0E4507
	v_mul_f32_e32 v56, v56, v4                                 // 0000000042DC: 0A700938
	v_mul_f32_e32 v57, v57, v5                                 // 0000000042E0: 0A720B39
	v_mul_f32_e32 v58, v58, v6                                 // 0000000042E4: 0A740D3A
	v_mul_f32_e32 v59, v59, v7                                 // 0000000042E8: 0A760F3B
	v_mul_f32_e32 v56, v56, v88                                // 0000000042EC: 0A70B138
	v_mul_f32_e32 v57, v57, v89                                // 0000000042F0: 0A72B339
	v_mul_f32_e32 v58, v58, v90                                // 0000000042F4: 0A74B53A
	v_mul_f32_e32 v59, v59, v91                                // 0000000042F8: 0A76B73B
	v_mul_f32_e64 v4, -v60, s6                                 // 0000000042FC: D1050004 20000D3C
	v_mul_f32_e64 v5, -v61, s6                                 // 000000004304: D1050005 20000D3D
	v_mul_f32_e64 v6, -v62, s6                                 // 00000000430C: D1050006 20000D3E
	v_mul_f32_e64 v7, -v63, s6                                 // 000000004314: D1050007 20000D3F
	v_exp_f32_e32 v4, v4                                       // 00000000431C: 7E084104
	v_exp_f32_e32 v5, v5                                       // 000000004320: 7E0A4105
	v_exp_f32_e32 v6, v6                                       // 000000004324: 7E0C4106
	v_exp_f32_e32 v7, v7                                       // 000000004328: 7E0E4107
	v_add_f32_e64 v4, v4, 1.0                                  // 00000000432C: D1010004 0001E504
	v_add_f32_e64 v5, v5, 1.0                                  // 000000004334: D1010005 0001E505
	v_add_f32_e64 v6, v6, 1.0                                  // 00000000433C: D1010006 0001E506
	v_add_f32_e64 v7, v7, 1.0                                  // 000000004344: D1010007 0001E507
	v_rcp_f32_e32 v4, v4                                       // 00000000434C: 7E084504
	v_rcp_f32_e32 v5, v5                                       // 000000004350: 7E0A4505
	v_rcp_f32_e32 v6, v6                                       // 000000004354: 7E0C4506
	v_rcp_f32_e32 v7, v7                                       // 000000004358: 7E0E4507
	v_mul_f32_e32 v60, v60, v4                                 // 00000000435C: 0A78093C
	v_mul_f32_e32 v61, v61, v5                                 // 000000004360: 0A7A0B3D
	v_mul_f32_e32 v62, v62, v6                                 // 000000004364: 0A7C0D3E
	v_mul_f32_e32 v63, v63, v7                                 // 000000004368: 0A7E0F3F
	v_mul_f32_e32 v60, v60, v92                                // 00000000436C: 0A78B93C
	v_mul_f32_e32 v61, v61, v93                                // 000000004370: 0A7ABB3D
	v_mul_f32_e32 v62, v62, v94                                // 000000004374: 0A7CBD3E
	v_mul_f32_e32 v63, v63, v95                                // 000000004378: 0A7EBF3F
	v_mul_f32_e64 v4, -v64, s6                                 // 00000000437C: D1050004 20000D40
	v_mul_f32_e64 v5, -v65, s6                                 // 000000004384: D1050005 20000D41
	v_mul_f32_e64 v6, -v66, s6                                 // 00000000438C: D1050006 20000D42
	v_mul_f32_e64 v7, -v67, s6                                 // 000000004394: D1050007 20000D43
	v_exp_f32_e32 v4, v4                                       // 00000000439C: 7E084104
	v_exp_f32_e32 v5, v5                                       // 0000000043A0: 7E0A4105
	v_exp_f32_e32 v6, v6                                       // 0000000043A4: 7E0C4106
	v_exp_f32_e32 v7, v7                                       // 0000000043A8: 7E0E4107
	v_add_f32_e64 v4, v4, 1.0                                  // 0000000043AC: D1010004 0001E504
	v_add_f32_e64 v5, v5, 1.0                                  // 0000000043B4: D1010005 0001E505
	v_add_f32_e64 v6, v6, 1.0                                  // 0000000043BC: D1010006 0001E506
	v_add_f32_e64 v7, v7, 1.0                                  // 0000000043C4: D1010007 0001E507
	v_rcp_f32_e32 v4, v4                                       // 0000000043CC: 7E084504
	v_rcp_f32_e32 v5, v5                                       // 0000000043D0: 7E0A4505
	v_rcp_f32_e32 v6, v6                                       // 0000000043D4: 7E0C4506
	v_rcp_f32_e32 v7, v7                                       // 0000000043D8: 7E0E4507
	v_mul_f32_e32 v64, v64, v4                                 // 0000000043DC: 0A800940
	v_mul_f32_e32 v65, v65, v5                                 // 0000000043E0: 0A820B41
	v_mul_f32_e32 v66, v66, v6                                 // 0000000043E4: 0A840D42
	v_mul_f32_e32 v67, v67, v7                                 // 0000000043E8: 0A860F43
	v_mul_f32_e32 v64, v64, v96                                // 0000000043EC: 0A80C140
	v_mul_f32_e32 v65, v65, v97                                // 0000000043F0: 0A82C341
	v_mul_f32_e32 v66, v66, v98                                // 0000000043F4: 0A84C542
	v_mul_f32_e32 v67, v67, v99                                // 0000000043F8: 0A86C743
	v_mul_f32_e64 v4, -v68, s6                                 // 0000000043FC: D1050004 20000D44
	v_mul_f32_e64 v5, -v69, s6                                 // 000000004404: D1050005 20000D45
	v_mul_f32_e64 v6, -v70, s6                                 // 00000000440C: D1050006 20000D46
	v_mul_f32_e64 v7, -v71, s6                                 // 000000004414: D1050007 20000D47
	v_exp_f32_e32 v4, v4                                       // 00000000441C: 7E084104
	v_exp_f32_e32 v5, v5                                       // 000000004420: 7E0A4105
	v_exp_f32_e32 v6, v6                                       // 000000004424: 7E0C4106
	v_exp_f32_e32 v7, v7                                       // 000000004428: 7E0E4107
	v_add_f32_e64 v4, v4, 1.0                                  // 00000000442C: D1010004 0001E504
	v_add_f32_e64 v5, v5, 1.0                                  // 000000004434: D1010005 0001E505
	v_add_f32_e64 v6, v6, 1.0                                  // 00000000443C: D1010006 0001E506
	v_add_f32_e64 v7, v7, 1.0                                  // 000000004444: D1010007 0001E507
	v_rcp_f32_e32 v4, v4                                       // 00000000444C: 7E084504
	v_rcp_f32_e32 v5, v5                                       // 000000004450: 7E0A4505
	v_rcp_f32_e32 v6, v6                                       // 000000004454: 7E0C4506
	v_rcp_f32_e32 v7, v7                                       // 000000004458: 7E0E4507
	v_mul_f32_e32 v68, v68, v4                                 // 00000000445C: 0A880944
	v_mul_f32_e32 v69, v69, v5                                 // 000000004460: 0A8A0B45
	v_mul_f32_e32 v70, v70, v6                                 // 000000004464: 0A8C0D46
	v_mul_f32_e32 v71, v71, v7                                 // 000000004468: 0A8E0F47
	v_mul_f32_e32 v68, v68, v100                               // 00000000446C: 0A88C944
	v_mul_f32_e32 v69, v69, v101                               // 000000004470: 0A8ACB45
	v_mul_f32_e32 v70, v70, v102                               // 000000004474: 0A8CCD46
	v_mul_f32_e32 v71, v71, v103                               // 000000004478: 0A8ECF47
	v_mul_f32_e64 v4, -v72, s6                                 // 00000000447C: D1050004 20000D48
	v_mul_f32_e64 v5, -v73, s6                                 // 000000004484: D1050005 20000D49
	v_mul_f32_e64 v6, -v74, s6                                 // 00000000448C: D1050006 20000D4A
	v_mul_f32_e64 v7, -v75, s6                                 // 000000004494: D1050007 20000D4B
	v_exp_f32_e32 v4, v4                                       // 00000000449C: 7E084104
	v_exp_f32_e32 v5, v5                                       // 0000000044A0: 7E0A4105
	v_exp_f32_e32 v6, v6                                       // 0000000044A4: 7E0C4106
	v_exp_f32_e32 v7, v7                                       // 0000000044A8: 7E0E4107
	v_add_f32_e64 v4, v4, 1.0                                  // 0000000044AC: D1010004 0001E504
	v_add_f32_e64 v5, v5, 1.0                                  // 0000000044B4: D1010005 0001E505
	v_add_f32_e64 v6, v6, 1.0                                  // 0000000044BC: D1010006 0001E506
	v_add_f32_e64 v7, v7, 1.0                                  // 0000000044C4: D1010007 0001E507
	v_rcp_f32_e32 v4, v4                                       // 0000000044CC: 7E084504
	v_rcp_f32_e32 v5, v5                                       // 0000000044D0: 7E0A4505
	v_rcp_f32_e32 v6, v6                                       // 0000000044D4: 7E0C4506
	v_rcp_f32_e32 v7, v7                                       // 0000000044D8: 7E0E4507
	v_mul_f32_e32 v72, v72, v4                                 // 0000000044DC: 0A900948
	v_mul_f32_e32 v73, v73, v5                                 // 0000000044E0: 0A920B49
	v_mul_f32_e32 v74, v74, v6                                 // 0000000044E4: 0A940D4A
	v_mul_f32_e32 v75, v75, v7                                 // 0000000044E8: 0A960F4B
	v_mul_f32_e32 v72, v72, v104                               // 0000000044EC: 0A90D148
	v_mul_f32_e32 v73, v73, v105                               // 0000000044F0: 0A92D349
	v_mul_f32_e32 v74, v74, v106                               // 0000000044F4: 0A94D54A
	v_mul_f32_e32 v75, v75, v107                               // 0000000044F8: 0A96D74B

00000000000044fc <label_06BF>:
	v_cmp_u_f32_e64 s[46:47], v44, v44                         // 0000000044FC: D048002E 0002592C
	v_add3_u32 v16, v44, v19, 1                                // 000000004504: D1FF0010 0206272C
	v_cndmask_b32_e64 v4, v16, v18, s[46:47]                   // 00000000450C: D1000004 00BA2510
	v_cmp_u_f32_e64 s[46:47], v45, v45                         // 000000004514: D048002E 00025B2D
	v_add3_u32 v16, v45, v19, 1                                // 00000000451C: D1FF0010 0206272D
	v_cndmask_b32_e64 v5, v16, v18, s[46:47]                   // 000000004524: D1000005 00BA2510
	v_perm_b32 v44, v5, v4, s52                                // 00000000452C: D1ED002C 00D20905
	v_cmp_u_f32_e64 s[46:47], v46, v46                         // 000000004534: D048002E 00025D2E
	v_add3_u32 v16, v46, v19, 1                                // 00000000453C: D1FF0010 0206272E
	v_cndmask_b32_e64 v4, v16, v18, s[46:47]                   // 000000004544: D1000004 00BA2510
	v_cmp_u_f32_e64 s[46:47], v47, v47                         // 00000000454C: D048002E 00025F2F
	v_add3_u32 v16, v47, v19, 1                                // 000000004554: D1FF0010 0206272F
	v_cndmask_b32_e64 v5, v16, v18, s[46:47]                   // 00000000455C: D1000005 00BA2510
	v_perm_b32 v45, v5, v4, s52                                // 000000004564: D1ED002D 00D20905
	v_cmp_u_f32_e64 s[46:47], v48, v48                         // 00000000456C: D048002E 00026130
	v_add3_u32 v16, v48, v19, 1                                // 000000004574: D1FF0010 02062730
	v_cndmask_b32_e64 v4, v16, v18, s[46:47]                   // 00000000457C: D1000004 00BA2510
	v_cmp_u_f32_e64 s[46:47], v49, v49                         // 000000004584: D048002E 00026331
	v_add3_u32 v16, v49, v19, 1                                // 00000000458C: D1FF0010 02062731
	v_cndmask_b32_e64 v5, v16, v18, s[46:47]                   // 000000004594: D1000005 00BA2510
	v_perm_b32 v46, v5, v4, s52                                // 00000000459C: D1ED002E 00D20905
	v_cmp_u_f32_e64 s[46:47], v50, v50                         // 0000000045A4: D048002E 00026532
	v_add3_u32 v16, v50, v19, 1                                // 0000000045AC: D1FF0010 02062732
	v_cndmask_b32_e64 v4, v16, v18, s[46:47]                   // 0000000045B4: D1000004 00BA2510
	v_cmp_u_f32_e64 s[46:47], v51, v51                         // 0000000045BC: D048002E 00026733
	v_add3_u32 v16, v51, v19, 1                                // 0000000045C4: D1FF0010 02062733
	v_cndmask_b32_e64 v5, v16, v18, s[46:47]                   // 0000000045CC: D1000005 00BA2510
	v_perm_b32 v47, v5, v4, s52                                // 0000000045D4: D1ED002F 00D20905
	v_cmp_u_f32_e64 s[46:47], v52, v52                         // 0000000045DC: D048002E 00026934
	v_add3_u32 v16, v52, v19, 1                                // 0000000045E4: D1FF0010 02062734
	v_cndmask_b32_e64 v4, v16, v18, s[46:47]                   // 0000000045EC: D1000004 00BA2510
	v_cmp_u_f32_e64 s[46:47], v53, v53                         // 0000000045F4: D048002E 00026B35
	v_add3_u32 v16, v53, v19, 1                                // 0000000045FC: D1FF0010 02062735
	v_cndmask_b32_e64 v5, v16, v18, s[46:47]                   // 000000004604: D1000005 00BA2510
	v_perm_b32 v48, v5, v4, s52                                // 00000000460C: D1ED0030 00D20905
	v_cmp_u_f32_e64 s[46:47], v54, v54                         // 000000004614: D048002E 00026D36
	v_add3_u32 v16, v54, v19, 1                                // 00000000461C: D1FF0010 02062736
	v_cndmask_b32_e64 v4, v16, v18, s[46:47]                   // 000000004624: D1000004 00BA2510
	v_cmp_u_f32_e64 s[46:47], v55, v55                         // 00000000462C: D048002E 00026F37
	v_add3_u32 v16, v55, v19, 1                                // 000000004634: D1FF0010 02062737
	v_cndmask_b32_e64 v5, v16, v18, s[46:47]                   // 00000000463C: D1000005 00BA2510
	v_perm_b32 v49, v5, v4, s52                                // 000000004644: D1ED0031 00D20905
	v_cmp_u_f32_e64 s[46:47], v56, v56                         // 00000000464C: D048002E 00027138
	v_add3_u32 v16, v56, v19, 1                                // 000000004654: D1FF0010 02062738
	v_cndmask_b32_e64 v4, v16, v18, s[46:47]                   // 00000000465C: D1000004 00BA2510
	v_cmp_u_f32_e64 s[46:47], v57, v57                         // 000000004664: D048002E 00027339
	v_add3_u32 v16, v57, v19, 1                                // 00000000466C: D1FF0010 02062739
	v_cndmask_b32_e64 v5, v16, v18, s[46:47]                   // 000000004674: D1000005 00BA2510
	v_perm_b32 v50, v5, v4, s52                                // 00000000467C: D1ED0032 00D20905
	v_cmp_u_f32_e64 s[46:47], v58, v58                         // 000000004684: D048002E 0002753A
	v_add3_u32 v16, v58, v19, 1                                // 00000000468C: D1FF0010 0206273A
	v_cndmask_b32_e64 v4, v16, v18, s[46:47]                   // 000000004694: D1000004 00BA2510
	v_cmp_u_f32_e64 s[46:47], v59, v59                         // 00000000469C: D048002E 0002773B
	v_add3_u32 v16, v59, v19, 1                                // 0000000046A4: D1FF0010 0206273B
	v_cndmask_b32_e64 v5, v16, v18, s[46:47]                   // 0000000046AC: D1000005 00BA2510
	v_perm_b32 v51, v5, v4, s52                                // 0000000046B4: D1ED0033 00D20905
	v_cmp_u_f32_e64 s[46:47], v60, v60                         // 0000000046BC: D048002E 0002793C
	v_add3_u32 v16, v60, v19, 1                                // 0000000046C4: D1FF0010 0206273C
	v_cndmask_b32_e64 v4, v16, v18, s[46:47]                   // 0000000046CC: D1000004 00BA2510
	v_cmp_u_f32_e64 s[46:47], v61, v61                         // 0000000046D4: D048002E 00027B3D
	v_add3_u32 v16, v61, v19, 1                                // 0000000046DC: D1FF0010 0206273D
	v_cndmask_b32_e64 v5, v16, v18, s[46:47]                   // 0000000046E4: D1000005 00BA2510
	v_perm_b32 v52, v5, v4, s52                                // 0000000046EC: D1ED0034 00D20905
	v_cmp_u_f32_e64 s[46:47], v62, v62                         // 0000000046F4: D048002E 00027D3E
	v_add3_u32 v16, v62, v19, 1                                // 0000000046FC: D1FF0010 0206273E
	v_cndmask_b32_e64 v4, v16, v18, s[46:47]                   // 000000004704: D1000004 00BA2510
	v_cmp_u_f32_e64 s[46:47], v63, v63                         // 00000000470C: D048002E 00027F3F
	v_add3_u32 v16, v63, v19, 1                                // 000000004714: D1FF0010 0206273F
	v_cndmask_b32_e64 v5, v16, v18, s[46:47]                   // 00000000471C: D1000005 00BA2510
	v_perm_b32 v53, v5, v4, s52                                // 000000004724: D1ED0035 00D20905
	v_cmp_u_f32_e64 s[46:47], v64, v64                         // 00000000472C: D048002E 00028140
	v_add3_u32 v16, v64, v19, 1                                // 000000004734: D1FF0010 02062740
	v_cndmask_b32_e64 v4, v16, v18, s[46:47]                   // 00000000473C: D1000004 00BA2510
	v_cmp_u_f32_e64 s[46:47], v65, v65                         // 000000004744: D048002E 00028341
	v_add3_u32 v16, v65, v19, 1                                // 00000000474C: D1FF0010 02062741
	v_cndmask_b32_e64 v5, v16, v18, s[46:47]                   // 000000004754: D1000005 00BA2510
	v_perm_b32 v54, v5, v4, s52                                // 00000000475C: D1ED0036 00D20905
	v_cmp_u_f32_e64 s[46:47], v66, v66                         // 000000004764: D048002E 00028542
	v_add3_u32 v16, v66, v19, 1                                // 00000000476C: D1FF0010 02062742
	v_cndmask_b32_e64 v4, v16, v18, s[46:47]                   // 000000004774: D1000004 00BA2510
	v_cmp_u_f32_e64 s[46:47], v67, v67                         // 00000000477C: D048002E 00028743
	v_add3_u32 v16, v67, v19, 1                                // 000000004784: D1FF0010 02062743
	v_cndmask_b32_e64 v5, v16, v18, s[46:47]                   // 00000000478C: D1000005 00BA2510
	v_perm_b32 v55, v5, v4, s52                                // 000000004794: D1ED0037 00D20905
	v_cmp_u_f32_e64 s[46:47], v68, v68                         // 00000000479C: D048002E 00028944
	v_add3_u32 v16, v68, v19, 1                                // 0000000047A4: D1FF0010 02062744
	v_cndmask_b32_e64 v4, v16, v18, s[46:47]                   // 0000000047AC: D1000004 00BA2510
	v_cmp_u_f32_e64 s[46:47], v69, v69                         // 0000000047B4: D048002E 00028B45
	v_add3_u32 v16, v69, v19, 1                                // 0000000047BC: D1FF0010 02062745
	v_cndmask_b32_e64 v5, v16, v18, s[46:47]                   // 0000000047C4: D1000005 00BA2510
	v_perm_b32 v56, v5, v4, s52                                // 0000000047CC: D1ED0038 00D20905
	v_cmp_u_f32_e64 s[46:47], v70, v70                         // 0000000047D4: D048002E 00028D46
	v_add3_u32 v16, v70, v19, 1                                // 0000000047DC: D1FF0010 02062746
	v_cndmask_b32_e64 v4, v16, v18, s[46:47]                   // 0000000047E4: D1000004 00BA2510
	v_cmp_u_f32_e64 s[46:47], v71, v71                         // 0000000047EC: D048002E 00028F47
	v_add3_u32 v16, v71, v19, 1                                // 0000000047F4: D1FF0010 02062747
	v_cndmask_b32_e64 v5, v16, v18, s[46:47]                   // 0000000047FC: D1000005 00BA2510
	v_perm_b32 v57, v5, v4, s52                                // 000000004804: D1ED0039 00D20905
	v_cmp_u_f32_e64 s[46:47], v72, v72                         // 00000000480C: D048002E 00029148
	v_add3_u32 v16, v72, v19, 1                                // 000000004814: D1FF0010 02062748
	v_cndmask_b32_e64 v4, v16, v18, s[46:47]                   // 00000000481C: D1000004 00BA2510
	v_cmp_u_f32_e64 s[46:47], v73, v73                         // 000000004824: D048002E 00029349
	v_add3_u32 v16, v73, v19, 1                                // 00000000482C: D1FF0010 02062749
	v_cndmask_b32_e64 v5, v16, v18, s[46:47]                   // 000000004834: D1000005 00BA2510
	v_perm_b32 v58, v5, v4, s52                                // 00000000483C: D1ED003A 00D20905
	v_cmp_u_f32_e64 s[46:47], v74, v74                         // 000000004844: D048002E 0002954A
	v_add3_u32 v16, v74, v19, 1                                // 00000000484C: D1FF0010 0206274A
	v_cndmask_b32_e64 v4, v16, v18, s[46:47]                   // 000000004854: D1000004 00BA2510
	v_cmp_u_f32_e64 s[46:47], v75, v75                         // 00000000485C: D048002E 0002974B
	v_add3_u32 v16, v75, v19, 1                                // 000000004864: D1FF0010 0206274B
	v_cndmask_b32_e64 v5, v16, v18, s[46:47]                   // 00000000486C: D1000005 00BA2510
	v_perm_b32 v59, v5, v4, s52                                // 000000004874: D1ED003B 00D20905
	ds_write_b64 v20, v[44:45]                                 // 00000000487C: D89A0000 00002C14
	ds_write_b64 v20, v[46:47] offset:2176                     // 000000004884: D89A0880 00002E14
	ds_write_b64 v20, v[48:49] offset:4352                     // 00000000488C: D89A1100 00003014
	ds_write_b64 v20, v[50:51] offset:6528                     // 000000004894: D89A1980 00003214
	ds_write_b64 v20, v[52:53] offset:8704                     // 00000000489C: D89A2200 00003414
	ds_write_b64 v20, v[54:55] offset:10880                    // 0000000048A4: D89A2A80 00003614
	ds_write_b64 v20, v[56:57] offset:13056                    // 0000000048AC: D89A3300 00003814
	ds_write_b64 v20, v[58:59] offset:15232                    // 0000000048B4: D89A3B80 00003A14
	v_lshrrev_b32_e32 v4, 5, v0                                // 0000000048BC: 20080085
	v_xor_b32_e32 v5, 1, v4                                    // 0000000048C0: 2A0A0881
	s_mul_i32 s60, s65, 2                                      // 0000000048C4: 923C8241
	s_cmp_eq_u32 s88, 0                                        // 0000000048C8: BF068058
	s_cselect_b32 s61, 1, 4                                    // 0000000048CC: 853D8481
	s_mul_i32 s60, s61, s60                                    // 0000000048D0: 923C3C3D
	v_readlane_b32 s82, v3, 0                                  // 0000000048D4: D2890052 00010103
	s_lshr_b32 s61, s82, 24                                    // 0000000048DC: 8F3D9852
	s_and_b32 s82, s82, 0xffffff                               // 0000000048E0: 8652FF52 00FFFFFF
	s_mul_i32 s82, s82, s71                                    // 0000000048E8: 92524752
	s_mul_i32 s61, s60, s61                                    // 0000000048EC: 923D3D3C
	s_add_u32 s82, s82, s61                                    // 0000000048F0: 80523D52
	v_mul_lo_u32 v6, v5, s82                                   // 0000000048F4: D2850006 0000A505
	v_readlane_b32 s82, v3, 1                                  // 0000000048FC: D2890052 00010303
	s_lshr_b32 s61, s82, 24                                    // 000000004904: 8F3D9852
	s_and_b32 s82, s82, 0xffffff                               // 000000004908: 8652FF52 00FFFFFF
	s_mul_i32 s82, s82, s71                                    // 000000004910: 92524752
	s_mul_i32 s61, s60, s61                                    // 000000004914: 923D3D3C
	s_add_u32 s82, s82, s61                                    // 000000004918: 80523D52
	v_mul_lo_u32 v7, v4, s82                                   // 00000000491C: D2850007 0000A504
	v_add_u32_e32 v33, v6, v7                                  // 000000004924: 68420F06
	v_readlane_b32 s82, v3, 2                                  // 000000004928: D2890052 00010503
	s_lshr_b32 s61, s82, 24                                    // 000000004930: 8F3D9852
	s_and_b32 s82, s82, 0xffffff                               // 000000004934: 8652FF52 00FFFFFF
	s_mul_i32 s82, s82, s71                                    // 00000000493C: 92524752
	s_mul_i32 s61, s60, s61                                    // 000000004940: 923D3D3C
	s_add_u32 s82, s82, s61                                    // 000000004944: 80523D52
	v_mul_lo_u32 v6, v5, s82                                   // 000000004948: D2850006 0000A505
	v_readlane_b32 s82, v3, 3                                  // 000000004950: D2890052 00010703
	s_lshr_b32 s61, s82, 24                                    // 000000004958: 8F3D9852
	s_and_b32 s82, s82, 0xffffff                               // 00000000495C: 8652FF52 00FFFFFF
	s_mul_i32 s82, s82, s71                                    // 000000004964: 92524752
	s_mul_i32 s61, s60, s61                                    // 000000004968: 923D3D3C
	s_add_u32 s82, s82, s61                                    // 00000000496C: 80523D52
	v_mul_lo_u32 v7, v4, s82                                   // 000000004970: D2850007 0000A504
	v_add_u32_e32 v34, v6, v7                                  // 000000004978: 68440F06
	v_and_b32_e32 v4, 31, v0                                   // 00000000497C: 2608009F
	v_lshrrev_b32_e32 v4, 1, v4                                // 000000004980: 20080881
	s_cmp_eq_u32 s88, 0                                        // 000000004984: BF068058
	s_cselect_b32 s61, 2, 4                                    // 000000004988: 853D8482
	v_mul_lo_u32 v4, v4, s61                                   // 00000000498C: D2850004 00007B04
	v_and_b32_e64 v5, v0, 1                                    // 000000004994: D1130005 00010300
	v_add_u32_e32 v4, v4, v5                                   // 00000000499C: 68080B04
	v_lshlrev_b32_e32 v4, 2, v4                                // 0000000049A0: 24080882
	v_add_u32_e32 v33, v33, v4                                 // 0000000049A4: 68420921
	v_add_u32_e32 v34, v34, v4                                 // 0000000049A8: 68440922
	s_waitcnt lgkmcnt(0)                                       // 0000000049AC: BF8CC07F
	s_barrier                                                  // 0000000049B0: BF8A0000
	ds_read_b32 v44, v21                                       // 0000000049B4: D86C0000 2C000015
	ds_read_b32 v45, v21 offset:64                             // 0000000049BC: D86C0040 2D000015
	ds_read_b32 v46, v21 offset:2176                           // 0000000049C4: D86C0880 2E000015
	ds_read_b32 v47, v21 offset:2240                           // 0000000049CC: D86C08C0 2F000015
	ds_read_b32 v48, v21 offset:4352                           // 0000000049D4: D86C1100 30000015
	ds_read_b32 v49, v21 offset:4416                           // 0000000049DC: D86C1140 31000015
	ds_read_b32 v50, v21 offset:6528                           // 0000000049E4: D86C1980 32000015
	ds_read_b32 v51, v21 offset:6592                           // 0000000049EC: D86C19C0 33000015
	ds_read_b32 v52, v21 offset:8704                           // 0000000049F4: D86C2200 34000015
	ds_read_b32 v53, v21 offset:8768                           // 0000000049FC: D86C2240 35000015
	ds_read_b32 v54, v21 offset:10880                          // 000000004A04: D86C2A80 36000015
	ds_read_b32 v55, v21 offset:10944                          // 000000004A0C: D86C2AC0 37000015
	ds_read_b32 v56, v21 offset:13056                          // 000000004A14: D86C3300 38000015
	ds_read_b32 v57, v21 offset:13120                          // 000000004A1C: D86C3340 39000015
	ds_read_b32 v58, v21 offset:15232                          // 000000004A24: D86C3B80 3A000015
	ds_read_b32 v59, v21 offset:15296                          // 000000004A2C: D86C3BC0 3B000015
	s_waitcnt lgkmcnt(0)                                       // 000000004A34: BF8CC07F
	s_mov_b32 s36, -1                                          // 000000004A38: BEA400C1
	s_mov_b32 s37, -1                                          // 000000004A3C: BEA500C1
	v_mov_b32_e32 v7, 0                                        // 000000004A40: 7E0E0280
	s_or_b32 s9, s9, 0x40000                                   // 000000004A44: 8709FF09 00040000
	s_mov_b64 exec, s[36:37]                                   // 000000004A4C: BEFE0124
	v_mov_b32_e32 v6, v33                                      // 000000004A50: 7E0C0321
	s_mov_b64 s[60:61], 0                                      // 000000004A54: BEBC0180
	v_readlane_b32 s82, v3, 0                                  // 000000004A58: D2890052 00010103
	s_and_b32 s82, s82, 0xffffff                               // 000000004A60: 8652FF52 00FFFFFF
	s_cmp_lt_u32 s82, s66                                      // 000000004A68: BF0A4252
	s_cselect_b32 s20, s36, s60                                // 000000004A6C: 85143C24
	v_readlane_b32 s82, v3, 1                                  // 000000004A70: D2890052 00010303
	s_and_b32 s82, s82, 0xffffff                               // 000000004A78: 8652FF52 00FFFFFF
	s_cmp_lt_u32 s82, s66                                      // 000000004A80: BF0A4252
	s_cselect_b32 s21, s36, s60                                // 000000004A84: 85153C24
	s_mov_b64 exec, s[20:21]                                   // 000000004A88: BEFE0114
	buffer_store_dword v44, v6, s[8:11], 0 offen               // 000000004A8C: E0701000 80022C06
	buffer_store_dword v46, v6, s[8:11], 0 offen offset:128    // 000000004A94: E0701080 80022E06
	buffer_store_dword v48, v6, s[8:11], 0 offen offset:256    // 000000004A9C: E0701100 80023006
	buffer_store_dword v50, v6, s[8:11], 0 offen offset:384    // 000000004AA4: E0701180 80023206
	buffer_store_dword v52, v6, s[8:11], 0 offen offset:512    // 000000004AAC: E0701200 80023406
	buffer_store_dword v54, v6, s[8:11], 0 offen offset:640    // 000000004AB4: E0701280 80023606
	buffer_store_dword v56, v6, s[8:11], 0 offen offset:768    // 000000004ABC: E0701300 80023806
	buffer_store_dword v58, v6, s[8:11], 0 offen offset:896    // 000000004AC4: E0701380 80023A06
	s_mov_b64 exec, s[36:37]                                   // 000000004ACC: BEFE0124
	v_mov_b32_e32 v6, v34                                      // 000000004AD0: 7E0C0322
	s_mov_b64 s[60:61], 0                                      // 000000004AD4: BEBC0180
	v_readlane_b32 s82, v3, 2                                  // 000000004AD8: D2890052 00010503
	s_and_b32 s82, s82, 0xffffff                               // 000000004AE0: 8652FF52 00FFFFFF
	s_cmp_lt_u32 s82, s66                                      // 000000004AE8: BF0A4252
	s_cselect_b32 s20, s36, s60                                // 000000004AEC: 85143C24
	v_readlane_b32 s82, v3, 3                                  // 000000004AF0: D2890052 00010703
	s_and_b32 s82, s82, 0xffffff                               // 000000004AF8: 8652FF52 00FFFFFF
	s_cmp_lt_u32 s82, s66                                      // 000000004B00: BF0A4252
	s_cselect_b32 s21, s36, s60                                // 000000004B04: 85153C24
	s_mov_b64 exec, s[20:21]                                   // 000000004B08: BEFE0114
	buffer_store_dword v45, v6, s[8:11], 0 offen               // 000000004B0C: E0701000 80022D06
	buffer_store_dword v47, v6, s[8:11], 0 offen offset:128    // 000000004B14: E0701080 80022F06
	buffer_store_dword v49, v6, s[8:11], 0 offen offset:256    // 000000004B1C: E0701100 80023106
	buffer_store_dword v51, v6, s[8:11], 0 offen offset:384    // 000000004B24: E0701180 80023306
	buffer_store_dword v53, v6, s[8:11], 0 offen offset:512    // 000000004B2C: E0701200 80023506
	buffer_store_dword v55, v6, s[8:11], 0 offen offset:640    // 000000004B34: E0701280 80023706
	buffer_store_dword v57, v6, s[8:11], 0 offen offset:768    // 000000004B3C: E0701300 80023906
	buffer_store_dword v59, v6, s[8:11], 0 offen offset:896    // 000000004B44: E0701380 80023B06
	s_mov_b64 exec, s[36:37]                                   // 000000004B4C: BEFE0124
	s_branch label_12FB                                        // 000000004B50: BF820AA3

0000000000004b54 <label_0855>:
	ds_write_b64 v20, v[44:45]                                 // 000000004B54: D89A0000 00002C14
	ds_write_b64 v20, v[48:49] offset:2176                     // 000000004B5C: D89A0880 00003014
	ds_write_b64 v20, v[52:53] offset:4352                     // 000000004B64: D89A1100 00003414
	ds_write_b64 v20, v[56:57] offset:6528                     // 000000004B6C: D89A1980 00003814
	ds_write_b64 v20, v[60:61] offset:8704                     // 000000004B74: D89A2200 00003C14
	ds_write_b64 v20, v[64:65] offset:10880                    // 000000004B7C: D89A2A80 00004014
	ds_write_b64 v20, v[68:69] offset:13056                    // 000000004B84: D89A3300 00004414
	ds_write_b64 v20, v[72:73] offset:15232                    // 000000004B8C: D89A3B80 00004814
	v_lshrrev_b32_e32 v4, 5, v0                                // 000000004B94: 20080085
	v_xor_b32_e32 v5, 1, v4                                    // 000000004B98: 2A0A0881
	s_mul_i32 s60, s65, 2                                      // 000000004B9C: 923C8241
	s_cmp_eq_u32 s88, 0                                        // 000000004BA0: BF068058
	s_cselect_b32 s61, 1, 4                                    // 000000004BA4: 853D8481
	s_mul_i32 s60, s61, s60                                    // 000000004BA8: 923C3C3D
	v_readlane_b32 s82, v3, 0                                  // 000000004BAC: D2890052 00010103
	s_lshr_b32 s61, s82, 24                                    // 000000004BB4: 8F3D9852
	s_and_b32 s82, s82, 0xffffff                               // 000000004BB8: 8652FF52 00FFFFFF
	s_mul_i32 s82, s82, s71                                    // 000000004BC0: 92524752
	s_mul_i32 s61, s60, s61                                    // 000000004BC4: 923D3D3C
	s_add_u32 s82, s82, s61                                    // 000000004BC8: 80523D52
	v_mul_lo_u32 v6, v5, s82                                   // 000000004BCC: D2850006 0000A505
	v_readlane_b32 s82, v3, 1                                  // 000000004BD4: D2890052 00010303
	s_lshr_b32 s61, s82, 24                                    // 000000004BDC: 8F3D9852
	s_and_b32 s82, s82, 0xffffff                               // 000000004BE0: 8652FF52 00FFFFFF
	s_mul_i32 s82, s82, s71                                    // 000000004BE8: 92524752
	s_mul_i32 s61, s60, s61                                    // 000000004BEC: 923D3D3C
	s_add_u32 s82, s82, s61                                    // 000000004BF0: 80523D52
	v_mul_lo_u32 v7, v4, s82                                   // 000000004BF4: D2850007 0000A504
	v_add_u32_e32 v33, v6, v7                                  // 000000004BFC: 68420F06
	v_readlane_b32 s82, v3, 2                                  // 000000004C00: D2890052 00010503
	s_lshr_b32 s61, s82, 24                                    // 000000004C08: 8F3D9852
	s_and_b32 s82, s82, 0xffffff                               // 000000004C0C: 8652FF52 00FFFFFF
	s_mul_i32 s82, s82, s71                                    // 000000004C14: 92524752
	s_mul_i32 s61, s60, s61                                    // 000000004C18: 923D3D3C
	s_add_u32 s82, s82, s61                                    // 000000004C1C: 80523D52
	v_mul_lo_u32 v6, v5, s82                                   // 000000004C20: D2850006 0000A505
	v_readlane_b32 s82, v3, 3                                  // 000000004C28: D2890052 00010703
	s_lshr_b32 s61, s82, 24                                    // 000000004C30: 8F3D9852
	s_and_b32 s82, s82, 0xffffff                               // 000000004C34: 8652FF52 00FFFFFF
	s_mul_i32 s82, s82, s71                                    // 000000004C3C: 92524752
	s_mul_i32 s61, s60, s61                                    // 000000004C40: 923D3D3C
	s_add_u32 s82, s82, s61                                    // 000000004C44: 80523D52
	v_mul_lo_u32 v7, v4, s82                                   // 000000004C48: D2850007 0000A504
	v_add_u32_e32 v34, v6, v7                                  // 000000004C50: 68440F06
	v_and_b32_e32 v4, 31, v0                                   // 000000004C54: 2608009F
	v_lshrrev_b32_e32 v4, 1, v4                                // 000000004C58: 20080881
	s_cmp_eq_u32 s88, 0                                        // 000000004C5C: BF068058
	s_cselect_b32 s61, 2, 4                                    // 000000004C60: 853D8482
	v_mul_lo_u32 v4, v4, s61                                   // 000000004C64: D2850004 00007B04
	v_and_b32_e64 v5, v0, 1                                    // 000000004C6C: D1130005 00010300
	v_add_u32_e32 v4, v4, v5                                   // 000000004C74: 68080B04
	v_lshlrev_b32_e32 v4, 2, v4                                // 000000004C78: 24080882
	v_add_u32_e32 v33, v33, v4                                 // 000000004C7C: 68420921
	v_add_u32_e32 v34, v34, v4                                 // 000000004C80: 68440922
	s_waitcnt lgkmcnt(0)                                       // 000000004C84: BF8CC07F
	s_barrier                                                  // 000000004C88: BF8A0000
	ds_read_b32 v44, v21                                       // 000000004C8C: D86C0000 2C000015
	ds_read_b32 v45, v21 offset:64                             // 000000004C94: D86C0040 2D000015
	ds_read_b32 v48, v21 offset:2176                           // 000000004C9C: D86C0880 30000015
	ds_read_b32 v49, v21 offset:2240                           // 000000004CA4: D86C08C0 31000015
	ds_read_b32 v52, v21 offset:4352                           // 000000004CAC: D86C1100 34000015
	ds_read_b32 v53, v21 offset:4416                           // 000000004CB4: D86C1140 35000015
	ds_read_b32 v56, v21 offset:6528                           // 000000004CBC: D86C1980 38000015
	ds_read_b32 v57, v21 offset:6592                           // 000000004CC4: D86C19C0 39000015
	ds_read_b32 v60, v21 offset:8704                           // 000000004CCC: D86C2200 3C000015
	ds_read_b32 v61, v21 offset:8768                           // 000000004CD4: D86C2240 3D000015
	ds_read_b32 v64, v21 offset:10880                          // 000000004CDC: D86C2A80 40000015
	ds_read_b32 v65, v21 offset:10944                          // 000000004CE4: D86C2AC0 41000015
	ds_read_b32 v68, v21 offset:13056                          // 000000004CEC: D86C3300 44000015
	ds_read_b32 v69, v21 offset:13120                          // 000000004CF4: D86C3340 45000015
	ds_read_b32 v72, v21 offset:15232                          // 000000004CFC: D86C3B80 48000015
	ds_read_b32 v73, v21 offset:15296                          // 000000004D04: D86C3BC0 49000015
	s_waitcnt lgkmcnt(0)                                       // 000000004D0C: BF8CC07F
	s_mov_b32 s36, -1                                          // 000000004D10: BEA400C1
	s_mov_b32 s37, -1                                          // 000000004D14: BEA500C1
	v_mov_b32_e32 v7, 0                                        // 000000004D18: 7E0E0280
	s_mov_b64 exec, s[36:37]                                   // 000000004D1C: BEFE0124
	v_mov_b32_e32 v6, v33                                      // 000000004D20: 7E0C0321
	s_mov_b64 s[60:61], 0                                      // 000000004D24: BEBC0180
	v_readlane_b32 s82, v3, 0                                  // 000000004D28: D2890052 00010103
	s_and_b32 s82, s82, 0xffffff                               // 000000004D30: 8652FF52 00FFFFFF
	s_cmp_lt_u32 s82, s66                                      // 000000004D38: BF0A4252
	s_cselect_b32 s20, s36, s60                                // 000000004D3C: 85143C24
	v_readlane_b32 s82, v3, 1                                  // 000000004D40: D2890052 00010303
	s_and_b32 s82, s82, 0xffffff                               // 000000004D48: 8652FF52 00FFFFFF
	s_cmp_lt_u32 s82, s66                                      // 000000004D50: BF0A4252
	s_cselect_b32 s21, s36, s60                                // 000000004D54: 85153C24
	s_mov_b64 exec, s[20:21]                                   // 000000004D58: BEFE0114
	global_atomic_add_f32 v6, v44, s[8:9]                      // 000000004D5C: DD348000 00082C06
	global_atomic_add_f32 v6, v48, s[8:9] offset:256           // 000000004D64: DD348100 00083006
	global_atomic_add_f32 v6, v52, s[8:9] offset:512           // 000000004D6C: DD348200 00083406
	global_atomic_add_f32 v6, v56, s[8:9] offset:768           // 000000004D74: DD348300 00083806
	global_atomic_add_f32 v6, v60, s[8:9] offset:1024          // 000000004D7C: DD348400 00083C06
	global_atomic_add_f32 v6, v64, s[8:9] offset:1280          // 000000004D84: DD348500 00084006
	global_atomic_add_f32 v6, v68, s[8:9] offset:1536          // 000000004D8C: DD348600 00084406
	global_atomic_add_f32 v6, v72, s[8:9] offset:1792          // 000000004D94: DD348700 00084806
	s_mov_b64 exec, s[36:37]                                   // 000000004D9C: BEFE0124
	v_mov_b32_e32 v6, v34                                      // 000000004DA0: 7E0C0322
	s_mov_b64 s[60:61], 0                                      // 000000004DA4: BEBC0180
	v_readlane_b32 s82, v3, 2                                  // 000000004DA8: D2890052 00010503
	s_and_b32 s82, s82, 0xffffff                               // 000000004DB0: 8652FF52 00FFFFFF
	s_cmp_lt_u32 s82, s66                                      // 000000004DB8: BF0A4252
	s_cselect_b32 s20, s36, s60                                // 000000004DBC: 85143C24
	v_readlane_b32 s82, v3, 3                                  // 000000004DC0: D2890052 00010703
	s_and_b32 s82, s82, 0xffffff                               // 000000004DC8: 8652FF52 00FFFFFF
	s_cmp_lt_u32 s82, s66                                      // 000000004DD0: BF0A4252
	s_cselect_b32 s21, s36, s60                                // 000000004DD4: 85153C24
	s_mov_b64 exec, s[20:21]                                   // 000000004DD8: BEFE0114
	global_atomic_add_f32 v6, v45, s[8:9]                      // 000000004DDC: DD348000 00082D06
	global_atomic_add_f32 v6, v49, s[8:9] offset:256           // 000000004DE4: DD348100 00083106
	global_atomic_add_f32 v6, v53, s[8:9] offset:512           // 000000004DEC: DD348200 00083506
	global_atomic_add_f32 v6, v57, s[8:9] offset:768           // 000000004DF4: DD348300 00083906
	global_atomic_add_f32 v6, v61, s[8:9] offset:1024          // 000000004DFC: DD348400 00083D06
	global_atomic_add_f32 v6, v65, s[8:9] offset:1280          // 000000004E04: DD348500 00084106
	global_atomic_add_f32 v6, v69, s[8:9] offset:1536          // 000000004E0C: DD348600 00084506
	global_atomic_add_f32 v6, v73, s[8:9] offset:1792          // 000000004E14: DD348700 00084906
	s_mov_b64 exec, s[36:37]                                   // 000000004E1C: BEFE0124
	ds_write_b64 v20, v[46:47]                                 // 000000004E20: D89A0000 00002E14
	ds_write_b64 v20, v[50:51] offset:2176                     // 000000004E28: D89A0880 00003214
	ds_write_b64 v20, v[54:55] offset:4352                     // 000000004E30: D89A1100 00003614
	ds_write_b64 v20, v[58:59] offset:6528                     // 000000004E38: D89A1980 00003A14
	ds_write_b64 v20, v[62:63] offset:8704                     // 000000004E40: D89A2200 00003E14
	ds_write_b64 v20, v[66:67] offset:10880                    // 000000004E48: D89A2A80 00004214
	ds_write_b64 v20, v[70:71] offset:13056                    // 000000004E50: D89A3300 00004614
	ds_write_b64 v20, v[74:75] offset:15232                    // 000000004E58: D89A3B80 00004A14
	s_waitcnt lgkmcnt(0)                                       // 000000004E60: BF8CC07F
	s_barrier                                                  // 000000004E64: BF8A0000
	ds_read_b32 v46, v21                                       // 000000004E68: D86C0000 2E000015
	ds_read_b32 v47, v21 offset:64                             // 000000004E70: D86C0040 2F000015
	ds_read_b32 v50, v21 offset:2176                           // 000000004E78: D86C0880 32000015
	ds_read_b32 v51, v21 offset:2240                           // 000000004E80: D86C08C0 33000015
	ds_read_b32 v54, v21 offset:4352                           // 000000004E88: D86C1100 36000015
	ds_read_b32 v55, v21 offset:4416                           // 000000004E90: D86C1140 37000015
	ds_read_b32 v58, v21 offset:6528                           // 000000004E98: D86C1980 3A000015
	ds_read_b32 v59, v21 offset:6592                           // 000000004EA0: D86C19C0 3B000015
	ds_read_b32 v62, v21 offset:8704                           // 000000004EA8: D86C2200 3E000015
	ds_read_b32 v63, v21 offset:8768                           // 000000004EB0: D86C2240 3F000015
	ds_read_b32 v66, v21 offset:10880                          // 000000004EB8: D86C2A80 42000015
	ds_read_b32 v67, v21 offset:10944                          // 000000004EC0: D86C2AC0 43000015
	ds_read_b32 v70, v21 offset:13056                          // 000000004EC8: D86C3300 46000015
	ds_read_b32 v71, v21 offset:13120                          // 000000004ED0: D86C3340 47000015
	ds_read_b32 v74, v21 offset:15232                          // 000000004ED8: D86C3B80 4A000015
	ds_read_b32 v75, v21 offset:15296                          // 000000004EE0: D86C3BC0 4B000015
	s_waitcnt lgkmcnt(0)                                       // 000000004EE8: BF8CC07F
	v_mov_b32_e32 v7, 0                                        // 000000004EEC: 7E0E0280
	s_mov_b64 exec, s[36:37]                                   // 000000004EF0: BEFE0124
	v_mov_b32_e32 v6, v33                                      // 000000004EF4: 7E0C0321
	s_mov_b64 s[60:61], 0                                      // 000000004EF8: BEBC0180
	v_readlane_b32 s82, v3, 0                                  // 000000004EFC: D2890052 00010103
	s_and_b32 s82, s82, 0xffffff                               // 000000004F04: 8652FF52 00FFFFFF
	s_cmp_lt_u32 s82, s66                                      // 000000004F0C: BF0A4252
	s_cselect_b32 s20, s36, s60                                // 000000004F10: 85143C24
	v_readlane_b32 s82, v3, 1                                  // 000000004F14: D2890052 00010303
	s_and_b32 s82, s82, 0xffffff                               // 000000004F1C: 8652FF52 00FFFFFF
	s_cmp_lt_u32 s82, s66                                      // 000000004F24: BF0A4252
	s_cselect_b32 s21, s36, s60                                // 000000004F28: 85153C24
	s_mov_b64 exec, s[20:21]                                   // 000000004F2C: BEFE0114
	global_atomic_add_f32 v6, v46, s[8:9] offset:8             // 000000004F30: DD348008 00082E06
	global_atomic_add_f32 v6, v50, s[8:9] offset:264           // 000000004F38: DD348108 00083206
	global_atomic_add_f32 v6, v54, s[8:9] offset:520           // 000000004F40: DD348208 00083606
	global_atomic_add_f32 v6, v58, s[8:9] offset:776           // 000000004F48: DD348308 00083A06
	global_atomic_add_f32 v6, v62, s[8:9] offset:1032          // 000000004F50: DD348408 00083E06
	global_atomic_add_f32 v6, v66, s[8:9] offset:1288          // 000000004F58: DD348508 00084206
	global_atomic_add_f32 v6, v70, s[8:9] offset:1544          // 000000004F60: DD348608 00084606
	global_atomic_add_f32 v6, v74, s[8:9] offset:1800          // 000000004F68: DD348708 00084A06
	s_mov_b64 exec, s[36:37]                                   // 000000004F70: BEFE0124
	v_mov_b32_e32 v6, v34                                      // 000000004F74: 7E0C0322
	s_mov_b64 s[60:61], 0                                      // 000000004F78: BEBC0180
	v_readlane_b32 s82, v3, 2                                  // 000000004F7C: D2890052 00010503
	s_and_b32 s82, s82, 0xffffff                               // 000000004F84: 8652FF52 00FFFFFF
	s_cmp_lt_u32 s82, s66                                      // 000000004F8C: BF0A4252
	s_cselect_b32 s20, s36, s60                                // 000000004F90: 85143C24
	v_readlane_b32 s82, v3, 3                                  // 000000004F94: D2890052 00010703
	s_and_b32 s82, s82, 0xffffff                               // 000000004F9C: 8652FF52 00FFFFFF
	s_cmp_lt_u32 s82, s66                                      // 000000004FA4: BF0A4252
	s_cselect_b32 s21, s36, s60                                // 000000004FA8: 85153C24
	s_mov_b64 exec, s[20:21]                                   // 000000004FAC: BEFE0114
	global_atomic_add_f32 v6, v47, s[8:9] offset:8             // 000000004FB0: DD348008 00082F06
	global_atomic_add_f32 v6, v51, s[8:9] offset:264           // 000000004FB8: DD348108 00083306
	global_atomic_add_f32 v6, v55, s[8:9] offset:520           // 000000004FC0: DD348208 00083706
	global_atomic_add_f32 v6, v59, s[8:9] offset:776           // 000000004FC8: DD348308 00083B06
	global_atomic_add_f32 v6, v63, s[8:9] offset:1032          // 000000004FD0: DD348408 00083F06
	global_atomic_add_f32 v6, v67, s[8:9] offset:1288          // 000000004FD8: DD348508 00084306
	global_atomic_add_f32 v6, v71, s[8:9] offset:1544          // 000000004FE0: DD348608 00084706
	global_atomic_add_f32 v6, v75, s[8:9] offset:1800          // 000000004FE8: DD348708 00084B06
	s_mov_b64 exec, s[36:37]                                   // 000000004FF0: BEFE0124
	ds_write_b64 v20, v[76:77]                                 // 000000004FF4: D89A0000 00004C14
	ds_write_b64 v20, v[80:81] offset:2176                     // 000000004FFC: D89A0880 00005014
	ds_write_b64 v20, v[84:85] offset:4352                     // 000000005004: D89A1100 00005414
	ds_write_b64 v20, v[88:89] offset:6528                     // 00000000500C: D89A1980 00005814
	ds_write_b64 v20, v[92:93] offset:8704                     // 000000005014: D89A2200 00005C14
	ds_write_b64 v20, v[96:97] offset:10880                    // 00000000501C: D89A2A80 00006014
	ds_write_b64 v20, v[100:101] offset:13056                  // 000000005024: D89A3300 00006414
	ds_write_b64 v20, v[104:105] offset:15232                  // 00000000502C: D89A3B80 00006814
	s_waitcnt lgkmcnt(0)                                       // 000000005034: BF8CC07F
	s_barrier                                                  // 000000005038: BF8A0000
	ds_read_b32 v76, v21                                       // 00000000503C: D86C0000 4C000015
	ds_read_b32 v77, v21 offset:64                             // 000000005044: D86C0040 4D000015
	ds_read_b32 v80, v21 offset:2176                           // 00000000504C: D86C0880 50000015
	ds_read_b32 v81, v21 offset:2240                           // 000000005054: D86C08C0 51000015
	ds_read_b32 v84, v21 offset:4352                           // 00000000505C: D86C1100 54000015
	ds_read_b32 v85, v21 offset:4416                           // 000000005064: D86C1140 55000015
	ds_read_b32 v88, v21 offset:6528                           // 00000000506C: D86C1980 58000015
	ds_read_b32 v89, v21 offset:6592                           // 000000005074: D86C19C0 59000015
	ds_read_b32 v92, v21 offset:8704                           // 00000000507C: D86C2200 5C000015
	ds_read_b32 v93, v21 offset:8768                           // 000000005084: D86C2240 5D000015
	ds_read_b32 v96, v21 offset:10880                          // 00000000508C: D86C2A80 60000015
	ds_read_b32 v97, v21 offset:10944                          // 000000005094: D86C2AC0 61000015
	ds_read_b32 v100, v21 offset:13056                         // 00000000509C: D86C3300 64000015
	ds_read_b32 v101, v21 offset:13120                         // 0000000050A4: D86C3340 65000015
	ds_read_b32 v104, v21 offset:15232                         // 0000000050AC: D86C3B80 68000015
	ds_read_b32 v105, v21 offset:15296                         // 0000000050B4: D86C3BC0 69000015
	s_mul_i32 s60, s65, 4                                      // 0000000050BC: 923C8441
	s_add_u32 s8, s60, s8                                      // 0000000050C0: 8008083C
	s_addc_u32 s9, 0, s9                                       // 0000000050C4: 82090980
	s_waitcnt lgkmcnt(0)                                       // 0000000050C8: BF8CC07F
	v_mov_b32_e32 v7, 0                                        // 0000000050CC: 7E0E0280
	s_mov_b64 exec, s[36:37]                                   // 0000000050D0: BEFE0124
	v_mov_b32_e32 v6, v33                                      // 0000000050D4: 7E0C0321
	s_mov_b64 s[60:61], 0                                      // 0000000050D8: BEBC0180
	v_readlane_b32 s82, v3, 0                                  // 0000000050DC: D2890052 00010103
	s_and_b32 s82, s82, 0xffffff                               // 0000000050E4: 8652FF52 00FFFFFF
	s_cmp_lt_u32 s82, s66                                      // 0000000050EC: BF0A4252
	s_cselect_b32 s20, s36, s60                                // 0000000050F0: 85143C24
	v_readlane_b32 s82, v3, 1                                  // 0000000050F4: D2890052 00010303
	s_and_b32 s82, s82, 0xffffff                               // 0000000050FC: 8652FF52 00FFFFFF
	s_cmp_lt_u32 s82, s66                                      // 000000005104: BF0A4252
	s_cselect_b32 s21, s36, s60                                // 000000005108: 85153C24
	s_mov_b64 exec, s[20:21]                                   // 00000000510C: BEFE0114
	global_atomic_add_f32 v6, v76, s[8:9]                      // 000000005110: DD348000 00084C06
	global_atomic_add_f32 v6, v80, s[8:9] offset:256           // 000000005118: DD348100 00085006
	global_atomic_add_f32 v6, v84, s[8:9] offset:512           // 000000005120: DD348200 00085406
	global_atomic_add_f32 v6, v88, s[8:9] offset:768           // 000000005128: DD348300 00085806
	global_atomic_add_f32 v6, v92, s[8:9] offset:1024          // 000000005130: DD348400 00085C06
	global_atomic_add_f32 v6, v96, s[8:9] offset:1280          // 000000005138: DD348500 00086006
	global_atomic_add_f32 v6, v100, s[8:9] offset:1536         // 000000005140: DD348600 00086406
	global_atomic_add_f32 v6, v104, s[8:9] offset:1792         // 000000005148: DD348700 00086806
	s_mov_b64 exec, s[36:37]                                   // 000000005150: BEFE0124
	v_mov_b32_e32 v6, v34                                      // 000000005154: 7E0C0322
	s_mov_b64 s[60:61], 0                                      // 000000005158: BEBC0180
	v_readlane_b32 s82, v3, 2                                  // 00000000515C: D2890052 00010503
	s_and_b32 s82, s82, 0xffffff                               // 000000005164: 8652FF52 00FFFFFF
	s_cmp_lt_u32 s82, s66                                      // 00000000516C: BF0A4252
	s_cselect_b32 s20, s36, s60                                // 000000005170: 85143C24
	v_readlane_b32 s82, v3, 3                                  // 000000005174: D2890052 00010703
	s_and_b32 s82, s82, 0xffffff                               // 00000000517C: 8652FF52 00FFFFFF
	s_cmp_lt_u32 s82, s66                                      // 000000005184: BF0A4252
	s_cselect_b32 s21, s36, s60                                // 000000005188: 85153C24
	s_mov_b64 exec, s[20:21]                                   // 00000000518C: BEFE0114
	global_atomic_add_f32 v6, v77, s[8:9]                      // 000000005190: DD348000 00084D06
	global_atomic_add_f32 v6, v81, s[8:9] offset:256           // 000000005198: DD348100 00085106
	global_atomic_add_f32 v6, v85, s[8:9] offset:512           // 0000000051A0: DD348200 00085506
	global_atomic_add_f32 v6, v89, s[8:9] offset:768           // 0000000051A8: DD348300 00085906
	global_atomic_add_f32 v6, v93, s[8:9] offset:1024          // 0000000051B0: DD348400 00085D06
	global_atomic_add_f32 v6, v97, s[8:9] offset:1280          // 0000000051B8: DD348500 00086106
	global_atomic_add_f32 v6, v101, s[8:9] offset:1536         // 0000000051C0: DD348600 00086506
	global_atomic_add_f32 v6, v105, s[8:9] offset:1792         // 0000000051C8: DD348700 00086906
	s_mov_b64 exec, s[36:37]                                   // 0000000051D0: BEFE0124
	ds_write_b64 v20, v[78:79]                                 // 0000000051D4: D89A0000 00004E14
	ds_write_b64 v20, v[82:83] offset:2176                     // 0000000051DC: D89A0880 00005214
	ds_write_b64 v20, v[86:87] offset:4352                     // 0000000051E4: D89A1100 00005614
	ds_write_b64 v20, v[90:91] offset:6528                     // 0000000051EC: D89A1980 00005A14
	ds_write_b64 v20, v[94:95] offset:8704                     // 0000000051F4: D89A2200 00005E14
	ds_write_b64 v20, v[98:99] offset:10880                    // 0000000051FC: D89A2A80 00006214
	ds_write_b64 v20, v[102:103] offset:13056                  // 000000005204: D89A3300 00006614
	ds_write_b64 v20, v[106:107] offset:15232                  // 00000000520C: D89A3B80 00006A14
	s_waitcnt lgkmcnt(0)                                       // 000000005214: BF8CC07F
	s_barrier                                                  // 000000005218: BF8A0000
	ds_read_b32 v78, v21                                       // 00000000521C: D86C0000 4E000015
	ds_read_b32 v79, v21 offset:64                             // 000000005224: D86C0040 4F000015
	ds_read_b32 v82, v21 offset:2176                           // 00000000522C: D86C0880 52000015
	ds_read_b32 v83, v21 offset:2240                           // 000000005234: D86C08C0 53000015
	ds_read_b32 v86, v21 offset:4352                           // 00000000523C: D86C1100 56000015
	ds_read_b32 v87, v21 offset:4416                           // 000000005244: D86C1140 57000015
	ds_read_b32 v90, v21 offset:6528                           // 00000000524C: D86C1980 5A000015
	ds_read_b32 v91, v21 offset:6592                           // 000000005254: D86C19C0 5B000015
	ds_read_b32 v94, v21 offset:8704                           // 00000000525C: D86C2200 5E000015
	ds_read_b32 v95, v21 offset:8768                           // 000000005264: D86C2240 5F000015
	ds_read_b32 v98, v21 offset:10880                          // 00000000526C: D86C2A80 62000015
	ds_read_b32 v99, v21 offset:10944                          // 000000005274: D86C2AC0 63000015
	ds_read_b32 v102, v21 offset:13056                         // 00000000527C: D86C3300 66000015
	ds_read_b32 v103, v21 offset:13120                         // 000000005284: D86C3340 67000015
	ds_read_b32 v106, v21 offset:15232                         // 00000000528C: D86C3B80 6A000015
	ds_read_b32 v107, v21 offset:15296                         // 000000005294: D86C3BC0 6B000015
	s_waitcnt lgkmcnt(0)                                       // 00000000529C: BF8CC07F
	v_mov_b32_e32 v7, 0                                        // 0000000052A0: 7E0E0280
	s_mov_b64 exec, s[36:37]                                   // 0000000052A4: BEFE0124
	v_mov_b32_e32 v6, v33                                      // 0000000052A8: 7E0C0321
	s_mov_b64 s[60:61], 0                                      // 0000000052AC: BEBC0180
	v_readlane_b32 s82, v3, 0                                  // 0000000052B0: D2890052 00010103
	s_and_b32 s82, s82, 0xffffff                               // 0000000052B8: 8652FF52 00FFFFFF
	s_cmp_lt_u32 s82, s66                                      // 0000000052C0: BF0A4252
	s_cselect_b32 s20, s36, s60                                // 0000000052C4: 85143C24
	v_readlane_b32 s82, v3, 1                                  // 0000000052C8: D2890052 00010303
	s_and_b32 s82, s82, 0xffffff                               // 0000000052D0: 8652FF52 00FFFFFF
	s_cmp_lt_u32 s82, s66                                      // 0000000052D8: BF0A4252
	s_cselect_b32 s21, s36, s60                                // 0000000052DC: 85153C24
	s_mov_b64 exec, s[20:21]                                   // 0000000052E0: BEFE0114
	global_atomic_add_f32 v6, v78, s[8:9] offset:8             // 0000000052E4: DD348008 00084E06
	global_atomic_add_f32 v6, v82, s[8:9] offset:264           // 0000000052EC: DD348108 00085206
	global_atomic_add_f32 v6, v86, s[8:9] offset:520           // 0000000052F4: DD348208 00085606
	global_atomic_add_f32 v6, v90, s[8:9] offset:776           // 0000000052FC: DD348308 00085A06
	global_atomic_add_f32 v6, v94, s[8:9] offset:1032          // 000000005304: DD348408 00085E06
	global_atomic_add_f32 v6, v98, s[8:9] offset:1288          // 00000000530C: DD348508 00086206
	global_atomic_add_f32 v6, v102, s[8:9] offset:1544         // 000000005314: DD348608 00086606
	global_atomic_add_f32 v6, v106, s[8:9] offset:1800         // 00000000531C: DD348708 00086A06
	s_mov_b64 exec, s[36:37]                                   // 000000005324: BEFE0124
	v_mov_b32_e32 v6, v34                                      // 000000005328: 7E0C0322
	s_mov_b64 s[60:61], 0                                      // 00000000532C: BEBC0180
	v_readlane_b32 s82, v3, 2                                  // 000000005330: D2890052 00010503
	s_and_b32 s82, s82, 0xffffff                               // 000000005338: 8652FF52 00FFFFFF
	s_cmp_lt_u32 s82, s66                                      // 000000005340: BF0A4252
	s_cselect_b32 s20, s36, s60                                // 000000005344: 85143C24
	v_readlane_b32 s82, v3, 3                                  // 000000005348: D2890052 00010703
	s_and_b32 s82, s82, 0xffffff                               // 000000005350: 8652FF52 00FFFFFF
	s_cmp_lt_u32 s82, s66                                      // 000000005358: BF0A4252
	s_cselect_b32 s21, s36, s60                                // 00000000535C: 85153C24
	s_mov_b64 exec, s[20:21]                                   // 000000005360: BEFE0114
	global_atomic_add_f32 v6, v79, s[8:9] offset:8             // 000000005364: DD348008 00084F06
	global_atomic_add_f32 v6, v83, s[8:9] offset:264           // 00000000536C: DD348108 00085306
	global_atomic_add_f32 v6, v87, s[8:9] offset:520           // 000000005374: DD348208 00085706
	global_atomic_add_f32 v6, v91, s[8:9] offset:776           // 00000000537C: DD348308 00085B06
	global_atomic_add_f32 v6, v95, s[8:9] offset:1032          // 000000005384: DD348408 00085F06
	global_atomic_add_f32 v6, v99, s[8:9] offset:1288          // 00000000538C: DD348508 00086306
	global_atomic_add_f32 v6, v103, s[8:9] offset:1544         // 000000005394: DD348608 00086706
	global_atomic_add_f32 v6, v107, s[8:9] offset:1800         // 00000000539C: DD348708 00086B06
	s_mov_b64 exec, s[36:37]                                   // 0000000053A4: BEFE0124
	s_branch label_12FB                                        // 0000000053A8: BF82088D

00000000000053ac <label_0A6E>:
	s_waitcnt vmcnt(14) lgkmcnt(0)                             // 0000000053AC: BF8C007E
	s_barrier                                                  // 0000000053B0: BF8A0000
	v_mfma_f32_16x16x32_fp8_fp8 v[44:47], a[16:17], a[0:1], v[44:47]// 0000000053B4: D3F3002C 1CB20110
	buffer_load_dwordx4 a[80:83], v35, s[84:87], 0 offen       // 0000000053BC: E05C1000 80955023
	v_mfma_f32_16x16x32_fp8_fp8 v[44:47], a[18:19], a[2:3], v[44:47]// 0000000053C4: D3F3002C 1CB20512
	v_mfma_f32_16x16x32_fp8_fp8 v[44:47], a[20:21], a[4:5], v[44:47]// 0000000053CC: D3F3002C 1CB20914
	v_mfma_f32_16x16x32_fp8_fp8 v[44:47], a[22:23], a[6:7], v[44:47]// 0000000053D4: D3F3002C 1CB20D16
	s_waitcnt vmcnt(13)                                        // 0000000053DC: BF8C0F7D
	v_mfma_f32_16x16x32_fp8_fp8 v[48:51], a[24:25], a[0:1], v[48:51]// 0000000053E0: D3F30030 1CC20118
	buffer_load_dwordx4 a[84:87], v35, s[84:87], 0 offen offset:1024// 0000000053E8: E05C1400 80955423
	v_mfma_f32_16x16x32_fp8_fp8 v[48:51], a[26:27], a[2:3], v[48:51]// 0000000053F0: D3F30030 1CC2051A
	v_mfma_f32_16x16x32_fp8_fp8 v[48:51], a[28:29], a[4:5], v[48:51]// 0000000053F8: D3F30030 1CC2091C
	v_mfma_f32_16x16x32_fp8_fp8 v[48:51], a[30:31], a[6:7], v[48:51]// 000000005400: D3F30030 1CC20D1E
	s_waitcnt vmcnt(12)                                        // 000000005408: BF8C0F7C
	v_mfma_f32_16x16x32_fp8_fp8 v[52:55], a[32:33], a[0:1], v[52:55]// 00000000540C: D3F30034 1CD20120
	buffer_load_dwordx4 a[88:91], v36, s[84:87], 0 offen       // 000000005414: E05C1000 80955824
	v_mfma_f32_16x16x32_fp8_fp8 v[52:55], a[34:35], a[2:3], v[52:55]// 00000000541C: D3F30034 1CD20522
	v_mfma_f32_16x16x32_fp8_fp8 v[52:55], a[36:37], a[4:5], v[52:55]// 000000005424: D3F30034 1CD20924
	v_mfma_f32_16x16x32_fp8_fp8 v[52:55], a[38:39], a[6:7], v[52:55]// 00000000542C: D3F30034 1CD20D26
	s_waitcnt vmcnt(11)                                        // 000000005434: BF8C0F7B
	v_mfma_f32_16x16x32_fp8_fp8 v[56:59], a[40:41], a[0:1], v[56:59]// 000000005438: D3F30038 1CE20128
	buffer_load_dwordx4 a[92:95], v36, s[84:87], 0 offen offset:1024// 000000005440: E05C1400 80955C24
	v_mfma_f32_16x16x32_fp8_fp8 v[56:59], a[42:43], a[2:3], v[56:59]// 000000005448: D3F30038 1CE2052A
	v_mfma_f32_16x16x32_fp8_fp8 v[56:59], a[44:45], a[4:5], v[56:59]// 000000005450: D3F30038 1CE2092C
	v_mfma_f32_16x16x32_fp8_fp8 v[56:59], a[46:47], a[6:7], v[56:59]// 000000005458: D3F30038 1CE20D2E
	s_waitcnt vmcnt(10)                                        // 000000005460: BF8C0F7A
	v_mfma_f32_16x16x32_fp8_fp8 v[60:63], a[48:49], a[0:1], v[60:63]// 000000005464: D3F3003C 1CF20130
	buffer_load_dwordx4 a[96:99], v37, s[84:87], 0 offen       // 00000000546C: E05C1000 80956025
	v_mfma_f32_16x16x32_fp8_fp8 v[60:63], a[50:51], a[2:3], v[60:63]// 000000005474: D3F3003C 1CF20532
	v_mfma_f32_16x16x32_fp8_fp8 v[60:63], a[52:53], a[4:5], v[60:63]// 00000000547C: D3F3003C 1CF20934
	v_mfma_f32_16x16x32_fp8_fp8 v[60:63], a[54:55], a[6:7], v[60:63]// 000000005484: D3F3003C 1CF20D36
	s_waitcnt vmcnt(9)                                         // 00000000548C: BF8C0F79
	v_mfma_f32_16x16x32_fp8_fp8 v[64:67], a[56:57], a[0:1], v[64:67]// 000000005490: D3F30040 1D020138
	buffer_load_dwordx4 a[100:103], v37, s[84:87], 0 offen offset:1024// 000000005498: E05C1400 80956425
	v_mfma_f32_16x16x32_fp8_fp8 v[64:67], a[58:59], a[2:3], v[64:67]// 0000000054A0: D3F30040 1D02053A
	v_mfma_f32_16x16x32_fp8_fp8 v[64:67], a[60:61], a[4:5], v[64:67]// 0000000054A8: D3F30040 1D02093C
	v_mfma_f32_16x16x32_fp8_fp8 v[64:67], a[62:63], a[6:7], v[64:67]// 0000000054B0: D3F30040 1D020D3E
	s_waitcnt vmcnt(8)                                         // 0000000054B8: BF8C0F78
	v_mfma_f32_16x16x32_fp8_fp8 v[68:71], a[64:65], a[0:1], v[68:71]// 0000000054BC: D3F30044 1D120140
	buffer_load_dwordx4 a[104:107], v38, s[84:87], 0 offen     // 0000000054C4: E05C1000 80956826
	v_mfma_f32_16x16x32_fp8_fp8 v[68:71], a[66:67], a[2:3], v[68:71]// 0000000054CC: D3F30044 1D120542
	v_mfma_f32_16x16x32_fp8_fp8 v[68:71], a[68:69], a[4:5], v[68:71]// 0000000054D4: D3F30044 1D120944
	v_mfma_f32_16x16x32_fp8_fp8 v[68:71], a[70:71], a[6:7], v[68:71]// 0000000054DC: D3F30044 1D120D46
	s_waitcnt vmcnt(7)                                         // 0000000054E4: BF8C0F77
	v_mfma_f32_16x16x32_fp8_fp8 v[72:75], a[72:73], a[0:1], v[72:75]// 0000000054E8: D3F30048 1D220148
	buffer_load_dwordx4 a[108:111], v38, s[84:87], 0 offen offset:1024// 0000000054F0: E05C1400 80956C26
	v_mfma_f32_16x16x32_fp8_fp8 v[72:75], a[74:75], a[2:3], v[72:75]// 0000000054F8: D3F30048 1D22054A
	s_add_u32 s60, 0x80, s80                                   // 000000005500: 803C50FF 00000080
	s_cmp_lt_u32 s60, s81                                      // 000000005508: BF0A513C
	s_cselect_b32 s83, s83, 0                                  // 00000000550C: 85538053
	v_mfma_f32_16x16x32_fp8_fp8 v[72:75], a[76:77], a[4:5], v[72:75]// 000000005510: D3F30048 1D22094C
	v_mfma_f32_16x16x32_fp8_fp8 v[72:75], a[78:79], a[6:7], v[72:75]// 000000005518: D3F30048 1D220D4E
	buffer_load_dwordx4 a[112:115], v39, s[84:87], 0 offen     // 000000005520: E05C1000 80957027
	buffer_load_dwordx4 a[116:119], v39, s[84:87], 0 offen offset:1024// 000000005528: E05C1400 80957427
	buffer_load_dwordx4 a[120:123], v40, s[84:87], 0 offen     // 000000005530: E05C1000 80957828
	buffer_load_dwordx4 a[124:127], v40, s[84:87], 0 offen offset:1024// 000000005538: E05C1400 80957C28
	buffer_load_dwordx4 a[128:131], v41, s[84:87], 0 offen     // 000000005540: E05C1000 80958029
	buffer_load_dwordx4 a[132:135], v41, s[84:87], 0 offen offset:1024// 000000005548: E05C1400 80958429
	buffer_load_dwordx4 a[136:139], v42, s[84:87], 0 offen     // 000000005550: E05C1000 8095882A
	buffer_load_dwordx4 a[140:143], v42, s[84:87], 0 offen offset:1024// 000000005558: E05C1400 80958C2A
	buffer_load_dword v33, s[20:23], 0 offen lds               // 000000005560: E0511000 80050021
	s_add_u32 m0, 0x100, s48                                   // 000000005568: 807C30FF 00000100
	buffer_load_dword v34, s[20:23], 0 offen lds               // 000000005570: E0511000 80050022
	s_add_u32 m0, 0, s49                                       // 000000005578: 807C3180
	s_waitcnt vmcnt(2)                                         // 00000000557C: BF8C0F72
	v_mfma_f32_16x16x32_fp8_fp8 v[76:79], a[80:81], a[0:1], v[76:79]// 000000005580: D3F3004C 1D320150
	buffer_load_dwordx4 a[16:19], v35, s[24:27], 0 offen       // 000000005588: E05C1000 80861023
	v_mfma_f32_16x16x32_fp8_fp8 v[76:79], a[82:83], a[2:3], v[76:79]// 000000005590: D3F3004C 1D320552
	v_mfma_f32_16x16x32_fp8_fp8 v[76:79], a[84:85], a[4:5], v[76:79]// 000000005598: D3F3004C 1D320954
	ds_read_b128 a[8:11], v2 offset:2176                       // 0000000055A0: DBFE0880 08000002
	ds_read_b128 a[12:15], v2 offset:2240                      // 0000000055A8: DBFE08C0 0C000002
	v_mfma_f32_16x16x32_fp8_fp8 v[76:79], a[86:87], a[6:7], v[76:79]// 0000000055B0: D3F3004C 1D320D56
	v_mfma_f32_16x16x32_fp8_fp8 v[80:83], a[88:89], a[0:1], v[80:83]// 0000000055B8: D3F30050 1D420158
	buffer_load_dwordx4 a[20:23], v35, s[24:27], 0 offen offset:1024// 0000000055C0: E05C1400 80861423
	v_mfma_f32_16x16x32_fp8_fp8 v[80:83], a[90:91], a[2:3], v[80:83]// 0000000055C8: D3F30050 1D42055A
	v_mfma_f32_16x16x32_fp8_fp8 v[80:83], a[92:93], a[4:5], v[80:83]// 0000000055D0: D3F30050 1D42095C
	v_mfma_f32_16x16x32_fp8_fp8 v[80:83], a[94:95], a[6:7], v[80:83]// 0000000055D8: D3F30050 1D420D5E
	v_mfma_f32_16x16x32_fp8_fp8 v[84:87], a[96:97], a[0:1], v[84:87]// 0000000055E0: D3F30054 1D520160
	buffer_load_dwordx4 a[24:27], v36, s[24:27], 0 offen       // 0000000055E8: E05C1000 80861824
	v_mfma_f32_16x16x32_fp8_fp8 v[84:87], a[98:99], a[2:3], v[84:87]// 0000000055F0: D3F30054 1D520562
	v_mfma_f32_16x16x32_fp8_fp8 v[84:87], a[100:101], a[4:5], v[84:87]// 0000000055F8: D3F30054 1D520964
	v_mfma_f32_16x16x32_fp8_fp8 v[84:87], a[102:103], a[6:7], v[84:87]// 000000005600: D3F30054 1D520D66
	v_mfma_f32_16x16x32_fp8_fp8 v[88:91], a[104:105], a[0:1], v[88:91]// 000000005608: D3F30058 1D620168
	buffer_load_dwordx4 a[28:31], v36, s[24:27], 0 offen offset:1024// 000000005610: E05C1400 80861C24
	v_mfma_f32_16x16x32_fp8_fp8 v[88:91], a[106:107], a[2:3], v[88:91]// 000000005618: D3F30058 1D62056A
	v_mfma_f32_16x16x32_fp8_fp8 v[88:91], a[108:109], a[4:5], v[88:91]// 000000005620: D3F30058 1D62096C
	v_mfma_f32_16x16x32_fp8_fp8 v[88:91], a[110:111], a[6:7], v[88:91]// 000000005628: D3F30058 1D620D6E
	v_mfma_f32_16x16x32_fp8_fp8 v[92:95], a[112:113], a[0:1], v[92:95]// 000000005630: D3F3005C 1D720170
	buffer_load_dwordx4 a[32:35], v37, s[24:27], 0 offen       // 000000005638: E05C1000 80862025
	v_mfma_f32_16x16x32_fp8_fp8 v[92:95], a[114:115], a[2:3], v[92:95]// 000000005640: D3F3005C 1D720572
	v_mfma_f32_16x16x32_fp8_fp8 v[92:95], a[116:117], a[4:5], v[92:95]// 000000005648: D3F3005C 1D720974
	v_mfma_f32_16x16x32_fp8_fp8 v[92:95], a[118:119], a[6:7], v[92:95]// 000000005650: D3F3005C 1D720D76
	v_mfma_f32_16x16x32_fp8_fp8 v[96:99], a[120:121], a[0:1], v[96:99]// 000000005658: D3F30060 1D820178
	buffer_load_dwordx4 a[36:39], v37, s[24:27], 0 offen offset:1024// 000000005660: E05C1400 80862425
	v_mfma_f32_16x16x32_fp8_fp8 v[96:99], a[122:123], a[2:3], v[96:99]// 000000005668: D3F30060 1D82057A
	v_mfma_f32_16x16x32_fp8_fp8 v[96:99], a[124:125], a[4:5], v[96:99]// 000000005670: D3F30060 1D82097C
	v_mfma_f32_16x16x32_fp8_fp8 v[96:99], a[126:127], a[6:7], v[96:99]// 000000005678: D3F30060 1D820D7E
	v_mfma_f32_16x16x32_fp8_fp8 v[100:103], a[128:129], a[0:1], v[100:103]// 000000005680: D3F30064 1D920180
	buffer_load_dwordx4 a[40:43], v38, s[24:27], 0 offen       // 000000005688: E05C1000 80862826
	v_mfma_f32_16x16x32_fp8_fp8 v[100:103], a[130:131], a[2:3], v[100:103]// 000000005690: D3F30064 1D920582
	v_mfma_f32_16x16x32_fp8_fp8 v[100:103], a[132:133], a[4:5], v[100:103]// 000000005698: D3F30064 1D920984
	s_add_u32 s60, 0x180, s80                                  // 0000000056A0: 803C50FF 00000180
	s_cmp_lt_u32 s60, s81                                      // 0000000056A8: BF0A513C
	s_cselect_b32 s57, s57, 0                                  // 0000000056AC: 85398039
	v_mfma_f32_16x16x32_fp8_fp8 v[100:103], a[134:135], a[6:7], v[100:103]// 0000000056B0: D3F30064 1D920D86
	s_add_u32 s60, 0x100, s80                                  // 0000000056B8: 803C50FF 00000100
	s_cmp_lt_u32 s60, s81                                      // 0000000056C0: BF0A513C
	s_cselect_b32 s58, s58, 0                                  // 0000000056C4: 853A803A
	v_mfma_f32_16x16x32_fp8_fp8 v[104:107], a[136:137], a[0:1], v[104:107]// 0000000056C8: D3F30068 1DA20188
	buffer_load_dwordx4 a[44:47], v38, s[24:27], 0 offen offset:1024// 0000000056D0: E05C1400 80862C26
	v_mfma_f32_16x16x32_fp8_fp8 v[104:107], a[138:139], a[2:3], v[104:107]// 0000000056D8: D3F30068 1DA2058A
	s_add_u32 s20, s57, s20                                    // 0000000056E0: 80141439
	s_addc_u32 s21, 0, s21                                     // 0000000056E4: 82151580
	v_mfma_f32_16x16x32_fp8_fp8 v[104:107], a[140:141], a[4:5], v[104:107]// 0000000056E8: D3F30068 1DA2098C
	s_add_u32 s84, s83, s84                                    // 0000000056F0: 80545453
	s_addc_u32 s85, 0, s85                                     // 0000000056F4: 82555580
	v_mfma_f32_16x16x32_fp8_fp8 v[104:107], a[142:143], a[6:7], v[104:107]// 0000000056F8: D3F30068 1DA20D8E
	buffer_load_dwordx4 a[48:51], v39, s[24:27], 0 offen       // 000000005700: E05C1000 80863027
	buffer_load_dwordx4 a[52:55], v39, s[24:27], 0 offen offset:1024// 000000005708: E05C1400 80863427
	buffer_load_dwordx4 a[56:59], v40, s[24:27], 0 offen       // 000000005710: E05C1000 80863828
	buffer_load_dwordx4 a[60:63], v40, s[24:27], 0 offen offset:1024// 000000005718: E05C1400 80863C28
	buffer_load_dwordx4 a[64:67], v41, s[24:27], 0 offen       // 000000005720: E05C1000 80864029
	buffer_load_dwordx4 a[68:71], v41, s[24:27], 0 offen offset:1024// 000000005728: E05C1400 80864429
	buffer_load_dwordx4 a[72:75], v42, s[24:27], 0 offen       // 000000005730: E05C1000 8086482A
	buffer_load_dwordx4 a[76:79], v42, s[24:27], 0 offen offset:1024// 000000005738: E05C1400 80864C2A
	s_add_u32 s24, s58, s24                                    // 000000005740: 8018183A
	s_addc_u32 s25, 0, s25                                     // 000000005744: 82191980
	s_addk_i32 s80, 0x80                                       // 000000005748: B7500080
	s_cmp_lt_i32 s80, s81                                      // 00000000574C: BF045150
	s_cbranch_scc0 label_0C43                                  // 000000005750: BF8400EB
	s_waitcnt vmcnt(14) lgkmcnt(0)                             // 000000005754: BF8C007E
	s_barrier                                                  // 000000005758: BF8A0000
	v_mfma_f32_16x16x32_fp8_fp8 v[44:47], a[16:17], a[8:9], v[44:47]// 00000000575C: D3F3002C 1CB21110
	buffer_load_dwordx4 a[80:83], v35, s[84:87], 0 offen       // 000000005764: E05C1000 80955023
	v_mfma_f32_16x16x32_fp8_fp8 v[44:47], a[18:19], a[10:11], v[44:47]// 00000000576C: D3F3002C 1CB21512
	v_mfma_f32_16x16x32_fp8_fp8 v[44:47], a[20:21], a[12:13], v[44:47]// 000000005774: D3F3002C 1CB21914
	v_mfma_f32_16x16x32_fp8_fp8 v[44:47], a[22:23], a[14:15], v[44:47]// 00000000577C: D3F3002C 1CB21D16
	s_waitcnt vmcnt(13)                                        // 000000005784: BF8C0F7D
	v_mfma_f32_16x16x32_fp8_fp8 v[48:51], a[24:25], a[8:9], v[48:51]// 000000005788: D3F30030 1CC21118
	buffer_load_dwordx4 a[84:87], v35, s[84:87], 0 offen offset:1024// 000000005790: E05C1400 80955423
	v_mfma_f32_16x16x32_fp8_fp8 v[48:51], a[26:27], a[10:11], v[48:51]// 000000005798: D3F30030 1CC2151A
	v_mfma_f32_16x16x32_fp8_fp8 v[48:51], a[28:29], a[12:13], v[48:51]// 0000000057A0: D3F30030 1CC2191C
	v_mfma_f32_16x16x32_fp8_fp8 v[48:51], a[30:31], a[14:15], v[48:51]// 0000000057A8: D3F30030 1CC21D1E
	s_waitcnt vmcnt(12)                                        // 0000000057B0: BF8C0F7C
	v_mfma_f32_16x16x32_fp8_fp8 v[52:55], a[32:33], a[8:9], v[52:55]// 0000000057B4: D3F30034 1CD21120
	buffer_load_dwordx4 a[88:91], v36, s[84:87], 0 offen       // 0000000057BC: E05C1000 80955824
	v_mfma_f32_16x16x32_fp8_fp8 v[52:55], a[34:35], a[10:11], v[52:55]// 0000000057C4: D3F30034 1CD21522
	v_mfma_f32_16x16x32_fp8_fp8 v[52:55], a[36:37], a[12:13], v[52:55]// 0000000057CC: D3F30034 1CD21924
	v_mfma_f32_16x16x32_fp8_fp8 v[52:55], a[38:39], a[14:15], v[52:55]// 0000000057D4: D3F30034 1CD21D26
	s_waitcnt vmcnt(11)                                        // 0000000057DC: BF8C0F7B
	v_mfma_f32_16x16x32_fp8_fp8 v[56:59], a[40:41], a[8:9], v[56:59]// 0000000057E0: D3F30038 1CE21128
	buffer_load_dwordx4 a[92:95], v36, s[84:87], 0 offen offset:1024// 0000000057E8: E05C1400 80955C24
	v_mfma_f32_16x16x32_fp8_fp8 v[56:59], a[42:43], a[10:11], v[56:59]// 0000000057F0: D3F30038 1CE2152A
	v_mfma_f32_16x16x32_fp8_fp8 v[56:59], a[44:45], a[12:13], v[56:59]// 0000000057F8: D3F30038 1CE2192C
	v_mfma_f32_16x16x32_fp8_fp8 v[56:59], a[46:47], a[14:15], v[56:59]// 000000005800: D3F30038 1CE21D2E
	s_waitcnt vmcnt(10)                                        // 000000005808: BF8C0F7A
	v_mfma_f32_16x16x32_fp8_fp8 v[60:63], a[48:49], a[8:9], v[60:63]// 00000000580C: D3F3003C 1CF21130
	buffer_load_dwordx4 a[96:99], v37, s[84:87], 0 offen       // 000000005814: E05C1000 80956025
	v_mfma_f32_16x16x32_fp8_fp8 v[60:63], a[50:51], a[10:11], v[60:63]// 00000000581C: D3F3003C 1CF21532
	v_mfma_f32_16x16x32_fp8_fp8 v[60:63], a[52:53], a[12:13], v[60:63]// 000000005824: D3F3003C 1CF21934
	v_mfma_f32_16x16x32_fp8_fp8 v[60:63], a[54:55], a[14:15], v[60:63]// 00000000582C: D3F3003C 1CF21D36
	s_waitcnt vmcnt(9)                                         // 000000005834: BF8C0F79
	v_mfma_f32_16x16x32_fp8_fp8 v[64:67], a[56:57], a[8:9], v[64:67]// 000000005838: D3F30040 1D021138
	buffer_load_dwordx4 a[100:103], v37, s[84:87], 0 offen offset:1024// 000000005840: E05C1400 80956425
	v_mfma_f32_16x16x32_fp8_fp8 v[64:67], a[58:59], a[10:11], v[64:67]// 000000005848: D3F30040 1D02153A
	v_mfma_f32_16x16x32_fp8_fp8 v[64:67], a[60:61], a[12:13], v[64:67]// 000000005850: D3F30040 1D02193C
	v_mfma_f32_16x16x32_fp8_fp8 v[64:67], a[62:63], a[14:15], v[64:67]// 000000005858: D3F30040 1D021D3E
	s_waitcnt vmcnt(8)                                         // 000000005860: BF8C0F78
	v_mfma_f32_16x16x32_fp8_fp8 v[68:71], a[64:65], a[8:9], v[68:71]// 000000005864: D3F30044 1D121140
	buffer_load_dwordx4 a[104:107], v38, s[84:87], 0 offen     // 00000000586C: E05C1000 80956826
	v_mfma_f32_16x16x32_fp8_fp8 v[68:71], a[66:67], a[10:11], v[68:71]// 000000005874: D3F30044 1D121542
	v_mfma_f32_16x16x32_fp8_fp8 v[68:71], a[68:69], a[12:13], v[68:71]// 00000000587C: D3F30044 1D121944
	v_mfma_f32_16x16x32_fp8_fp8 v[68:71], a[70:71], a[14:15], v[68:71]// 000000005884: D3F30044 1D121D46
	s_waitcnt vmcnt(7)                                         // 00000000588C: BF8C0F77
	v_mfma_f32_16x16x32_fp8_fp8 v[72:75], a[72:73], a[8:9], v[72:75]// 000000005890: D3F30048 1D221148
	buffer_load_dwordx4 a[108:111], v38, s[84:87], 0 offen offset:1024// 000000005898: E05C1400 80956C26
	v_mfma_f32_16x16x32_fp8_fp8 v[72:75], a[74:75], a[10:11], v[72:75]// 0000000058A0: D3F30048 1D22154A
	s_add_u32 s60, 0x80, s80                                   // 0000000058A8: 803C50FF 00000080
	s_cmp_lt_u32 s60, s81                                      // 0000000058B0: BF0A513C
	s_cselect_b32 s83, s83, 0                                  // 0000000058B4: 85538053
	v_mfma_f32_16x16x32_fp8_fp8 v[72:75], a[76:77], a[12:13], v[72:75]// 0000000058B8: D3F30048 1D22194C
	v_mfma_f32_16x16x32_fp8_fp8 v[72:75], a[78:79], a[14:15], v[72:75]// 0000000058C0: D3F30048 1D221D4E
	buffer_load_dwordx4 a[112:115], v39, s[84:87], 0 offen     // 0000000058C8: E05C1000 80957027
	buffer_load_dwordx4 a[116:119], v39, s[84:87], 0 offen offset:1024// 0000000058D0: E05C1400 80957427
	buffer_load_dwordx4 a[120:123], v40, s[84:87], 0 offen     // 0000000058D8: E05C1000 80957828
	buffer_load_dwordx4 a[124:127], v40, s[84:87], 0 offen offset:1024// 0000000058E0: E05C1400 80957C28
	buffer_load_dwordx4 a[128:131], v41, s[84:87], 0 offen     // 0000000058E8: E05C1000 80958029
	buffer_load_dwordx4 a[132:135], v41, s[84:87], 0 offen offset:1024// 0000000058F0: E05C1400 80958429
	buffer_load_dwordx4 a[136:139], v42, s[84:87], 0 offen     // 0000000058F8: E05C1000 8095882A
	buffer_load_dwordx4 a[140:143], v42, s[84:87], 0 offen offset:1024// 000000005900: E05C1400 80958C2A
	buffer_load_dword v33, s[20:23], 0 offen lds               // 000000005908: E0511000 80050021
	s_add_u32 m0, 0x100, s49                                   // 000000005910: 807C31FF 00000100
	buffer_load_dword v34, s[20:23], 0 offen lds               // 000000005918: E0511000 80050022
	s_add_u32 m0, 0, s48                                       // 000000005920: 807C3080
	s_waitcnt vmcnt(2)                                         // 000000005924: BF8C0F72
	v_mfma_f32_16x16x32_fp8_fp8 v[76:79], a[80:81], a[8:9], v[76:79]// 000000005928: D3F3004C 1D321150
	buffer_load_dwordx4 a[16:19], v35, s[24:27], 0 offen       // 000000005930: E05C1000 80861023
	v_mfma_f32_16x16x32_fp8_fp8 v[76:79], a[82:83], a[10:11], v[76:79]// 000000005938: D3F3004C 1D321552
	v_mfma_f32_16x16x32_fp8_fp8 v[76:79], a[84:85], a[12:13], v[76:79]// 000000005940: D3F3004C 1D321954
	ds_read_b128 a[0:3], v2                                    // 000000005948: DBFE0000 00000002
	ds_read_b128 a[4:7], v2 offset:64                          // 000000005950: DBFE0040 04000002
	v_mfma_f32_16x16x32_fp8_fp8 v[76:79], a[86:87], a[14:15], v[76:79]// 000000005958: D3F3004C 1D321D56
	v_mfma_f32_16x16x32_fp8_fp8 v[80:83], a[88:89], a[8:9], v[80:83]// 000000005960: D3F30050 1D421158
	buffer_load_dwordx4 a[20:23], v35, s[24:27], 0 offen offset:1024// 000000005968: E05C1400 80861423
	v_mfma_f32_16x16x32_fp8_fp8 v[80:83], a[90:91], a[10:11], v[80:83]// 000000005970: D3F30050 1D42155A
	v_mfma_f32_16x16x32_fp8_fp8 v[80:83], a[92:93], a[12:13], v[80:83]// 000000005978: D3F30050 1D42195C
	v_mfma_f32_16x16x32_fp8_fp8 v[80:83], a[94:95], a[14:15], v[80:83]// 000000005980: D3F30050 1D421D5E
	v_mfma_f32_16x16x32_fp8_fp8 v[84:87], a[96:97], a[8:9], v[84:87]// 000000005988: D3F30054 1D521160
	buffer_load_dwordx4 a[24:27], v36, s[24:27], 0 offen       // 000000005990: E05C1000 80861824
	v_mfma_f32_16x16x32_fp8_fp8 v[84:87], a[98:99], a[10:11], v[84:87]// 000000005998: D3F30054 1D521562
	v_mfma_f32_16x16x32_fp8_fp8 v[84:87], a[100:101], a[12:13], v[84:87]// 0000000059A0: D3F30054 1D521964
	v_mfma_f32_16x16x32_fp8_fp8 v[84:87], a[102:103], a[14:15], v[84:87]// 0000000059A8: D3F30054 1D521D66
	v_mfma_f32_16x16x32_fp8_fp8 v[88:91], a[104:105], a[8:9], v[88:91]// 0000000059B0: D3F30058 1D621168
	buffer_load_dwordx4 a[28:31], v36, s[24:27], 0 offen offset:1024// 0000000059B8: E05C1400 80861C24
	v_mfma_f32_16x16x32_fp8_fp8 v[88:91], a[106:107], a[10:11], v[88:91]// 0000000059C0: D3F30058 1D62156A
	v_mfma_f32_16x16x32_fp8_fp8 v[88:91], a[108:109], a[12:13], v[88:91]// 0000000059C8: D3F30058 1D62196C
	v_mfma_f32_16x16x32_fp8_fp8 v[88:91], a[110:111], a[14:15], v[88:91]// 0000000059D0: D3F30058 1D621D6E
	v_mfma_f32_16x16x32_fp8_fp8 v[92:95], a[112:113], a[8:9], v[92:95]// 0000000059D8: D3F3005C 1D721170
	buffer_load_dwordx4 a[32:35], v37, s[24:27], 0 offen       // 0000000059E0: E05C1000 80862025
	v_mfma_f32_16x16x32_fp8_fp8 v[92:95], a[114:115], a[10:11], v[92:95]// 0000000059E8: D3F3005C 1D721572
	v_mfma_f32_16x16x32_fp8_fp8 v[92:95], a[116:117], a[12:13], v[92:95]// 0000000059F0: D3F3005C 1D721974
	v_mfma_f32_16x16x32_fp8_fp8 v[92:95], a[118:119], a[14:15], v[92:95]// 0000000059F8: D3F3005C 1D721D76
	v_mfma_f32_16x16x32_fp8_fp8 v[96:99], a[120:121], a[8:9], v[96:99]// 000000005A00: D3F30060 1D821178
	buffer_load_dwordx4 a[36:39], v37, s[24:27], 0 offen offset:1024// 000000005A08: E05C1400 80862425
	v_mfma_f32_16x16x32_fp8_fp8 v[96:99], a[122:123], a[10:11], v[96:99]// 000000005A10: D3F30060 1D82157A
	v_mfma_f32_16x16x32_fp8_fp8 v[96:99], a[124:125], a[12:13], v[96:99]// 000000005A18: D3F30060 1D82197C
	v_mfma_f32_16x16x32_fp8_fp8 v[96:99], a[126:127], a[14:15], v[96:99]// 000000005A20: D3F30060 1D821D7E
	v_mfma_f32_16x16x32_fp8_fp8 v[100:103], a[128:129], a[8:9], v[100:103]// 000000005A28: D3F30064 1D921180
	buffer_load_dwordx4 a[40:43], v38, s[24:27], 0 offen       // 000000005A30: E05C1000 80862826
	v_mfma_f32_16x16x32_fp8_fp8 v[100:103], a[130:131], a[10:11], v[100:103]// 000000005A38: D3F30064 1D921582
	v_mfma_f32_16x16x32_fp8_fp8 v[100:103], a[132:133], a[12:13], v[100:103]// 000000005A40: D3F30064 1D921984
	s_add_u32 s60, 0x180, s80                                  // 000000005A48: 803C50FF 00000180
	s_cmp_lt_u32 s60, s81                                      // 000000005A50: BF0A513C
	s_cselect_b32 s57, s57, 0                                  // 000000005A54: 85398039
	v_mfma_f32_16x16x32_fp8_fp8 v[100:103], a[134:135], a[14:15], v[100:103]// 000000005A58: D3F30064 1D921D86
	s_add_u32 s60, 0x100, s80                                  // 000000005A60: 803C50FF 00000100
	s_cmp_lt_u32 s60, s81                                      // 000000005A68: BF0A513C
	s_cselect_b32 s58, s58, 0                                  // 000000005A6C: 853A803A
	v_mfma_f32_16x16x32_fp8_fp8 v[104:107], a[136:137], a[8:9], v[104:107]// 000000005A70: D3F30068 1DA21188
	buffer_load_dwordx4 a[44:47], v38, s[24:27], 0 offen offset:1024// 000000005A78: E05C1400 80862C26
	v_mfma_f32_16x16x32_fp8_fp8 v[104:107], a[138:139], a[10:11], v[104:107]// 000000005A80: D3F30068 1DA2158A
	s_add_u32 s20, s57, s20                                    // 000000005A88: 80141439
	s_addc_u32 s21, 0, s21                                     // 000000005A8C: 82151580
	v_mfma_f32_16x16x32_fp8_fp8 v[104:107], a[140:141], a[12:13], v[104:107]// 000000005A90: D3F30068 1DA2198C
	s_add_u32 s84, s83, s84                                    // 000000005A98: 80545453
	s_addc_u32 s85, 0, s85                                     // 000000005A9C: 82555580
	v_mfma_f32_16x16x32_fp8_fp8 v[104:107], a[142:143], a[14:15], v[104:107]// 000000005AA0: D3F30068 1DA21D8E
	buffer_load_dwordx4 a[48:51], v39, s[24:27], 0 offen       // 000000005AA8: E05C1000 80863027
	buffer_load_dwordx4 a[52:55], v39, s[24:27], 0 offen offset:1024// 000000005AB0: E05C1400 80863427
	buffer_load_dwordx4 a[56:59], v40, s[24:27], 0 offen       // 000000005AB8: E05C1000 80863828
	buffer_load_dwordx4 a[60:63], v40, s[24:27], 0 offen offset:1024// 000000005AC0: E05C1400 80863C28
	buffer_load_dwordx4 a[64:67], v41, s[24:27], 0 offen       // 000000005AC8: E05C1000 80864029
	buffer_load_dwordx4 a[68:71], v41, s[24:27], 0 offen offset:1024// 000000005AD0: E05C1400 80864429
	buffer_load_dwordx4 a[72:75], v42, s[24:27], 0 offen       // 000000005AD8: E05C1000 8086482A
	buffer_load_dwordx4 a[76:79], v42, s[24:27], 0 offen offset:1024// 000000005AE0: E05C1400 80864C2A
	s_add_u32 s24, s58, s24                                    // 000000005AE8: 8018183A
	s_addc_u32 s25, 0, s25                                     // 000000005AEC: 82191980
	s_addk_i32 s80, 0x80                                       // 000000005AF0: B7500080
	s_cmp_lt_i32 s80, s81                                      // 000000005AF4: BF045150
	s_cbranch_scc0 label_0C43                                  // 000000005AF8: BF840001
	s_branch label_0A6E                                        // 000000005AFC: BF82FE2B

0000000000005b00 <label_0C43>:
	v_mul_f32_dpp v44, v25, v44 row_newbcast:0 row_mask:0xf bank_mask:0xf// 000000005B00: 0A5858FA FF015019
	v_mul_f32_dpp v45, v25, v45 row_newbcast:1 row_mask:0xf bank_mask:0xf// 000000005B08: 0A5A5AFA FF015119
	v_mul_f32_dpp v46, v25, v46 row_newbcast:2 row_mask:0xf bank_mask:0xf// 000000005B10: 0A5C5CFA FF015219
	v_mul_f32_dpp v47, v25, v47 row_newbcast:3 row_mask:0xf bank_mask:0xf// 000000005B18: 0A5E5EFA FF015319
	v_mul_f32_dpp v48, v25, v48 row_newbcast:4 row_mask:0xf bank_mask:0xf// 000000005B20: 0A6060FA FF015419
	v_mul_f32_dpp v49, v25, v49 row_newbcast:5 row_mask:0xf bank_mask:0xf// 000000005B28: 0A6262FA FF015519
	v_mul_f32_dpp v50, v25, v50 row_newbcast:6 row_mask:0xf bank_mask:0xf// 000000005B30: 0A6464FA FF015619
	v_mul_f32_dpp v51, v25, v51 row_newbcast:7 row_mask:0xf bank_mask:0xf// 000000005B38: 0A6666FA FF015719
	v_mul_f32_dpp v52, v25, v52 row_newbcast:8 row_mask:0xf bank_mask:0xf// 000000005B40: 0A6868FA FF015819
	v_mul_f32_dpp v53, v25, v53 row_newbcast:9 row_mask:0xf bank_mask:0xf// 000000005B48: 0A6A6AFA FF015919
	v_mul_f32_dpp v54, v25, v54 row_newbcast:10 row_mask:0xf bank_mask:0xf// 000000005B50: 0A6C6CFA FF015A19
	v_mul_f32_dpp v55, v25, v55 row_newbcast:11 row_mask:0xf bank_mask:0xf// 000000005B58: 0A6E6EFA FF015B19
	v_mul_f32_dpp v56, v25, v56 row_newbcast:12 row_mask:0xf bank_mask:0xf// 000000005B60: 0A7070FA FF015C19
	v_mul_f32_dpp v57, v25, v57 row_newbcast:13 row_mask:0xf bank_mask:0xf// 000000005B68: 0A7272FA FF015D19
	v_mul_f32_dpp v58, v25, v58 row_newbcast:14 row_mask:0xf bank_mask:0xf// 000000005B70: 0A7474FA FF015E19
	v_mul_f32_dpp v59, v25, v59 row_newbcast:15 row_mask:0xf bank_mask:0xf// 000000005B78: 0A7676FA FF015F19
	v_mul_f32_dpp v60, v26, v60 row_newbcast:0 row_mask:0xf bank_mask:0xf// 000000005B80: 0A7878FA FF01501A
	v_mul_f32_dpp v61, v26, v61 row_newbcast:1 row_mask:0xf bank_mask:0xf// 000000005B88: 0A7A7AFA FF01511A
	v_mul_f32_dpp v62, v26, v62 row_newbcast:2 row_mask:0xf bank_mask:0xf// 000000005B90: 0A7C7CFA FF01521A
	v_mul_f32_dpp v63, v26, v63 row_newbcast:3 row_mask:0xf bank_mask:0xf// 000000005B98: 0A7E7EFA FF01531A
	v_mul_f32_dpp v64, v26, v64 row_newbcast:4 row_mask:0xf bank_mask:0xf// 000000005BA0: 0A8080FA FF01541A
	v_mul_f32_dpp v65, v26, v65 row_newbcast:5 row_mask:0xf bank_mask:0xf// 000000005BA8: 0A8282FA FF01551A
	v_mul_f32_dpp v66, v26, v66 row_newbcast:6 row_mask:0xf bank_mask:0xf// 000000005BB0: 0A8484FA FF01561A
	v_mul_f32_dpp v67, v26, v67 row_newbcast:7 row_mask:0xf bank_mask:0xf// 000000005BB8: 0A8686FA FF01571A
	v_mul_f32_dpp v68, v26, v68 row_newbcast:8 row_mask:0xf bank_mask:0xf// 000000005BC0: 0A8888FA FF01581A
	v_mul_f32_dpp v69, v26, v69 row_newbcast:9 row_mask:0xf bank_mask:0xf// 000000005BC8: 0A8A8AFA FF01591A
	v_mul_f32_dpp v70, v26, v70 row_newbcast:10 row_mask:0xf bank_mask:0xf// 000000005BD0: 0A8C8CFA FF015A1A
	v_mul_f32_dpp v71, v26, v71 row_newbcast:11 row_mask:0xf bank_mask:0xf// 000000005BD8: 0A8E8EFA FF015B1A
	v_mul_f32_dpp v72, v26, v72 row_newbcast:12 row_mask:0xf bank_mask:0xf// 000000005BE0: 0A9090FA FF015C1A
	v_mul_f32_dpp v73, v26, v73 row_newbcast:13 row_mask:0xf bank_mask:0xf// 000000005BE8: 0A9292FA FF015D1A
	v_mul_f32_dpp v74, v26, v74 row_newbcast:14 row_mask:0xf bank_mask:0xf// 000000005BF0: 0A9494FA FF015E1A
	v_mul_f32_dpp v75, v26, v75 row_newbcast:15 row_mask:0xf bank_mask:0xf// 000000005BF8: 0A9696FA FF015F1A
	v_mul_f32_dpp v76, v27, v76 row_newbcast:0 row_mask:0xf bank_mask:0xf// 000000005C00: 0A9898FA FF01501B
	v_mul_f32_dpp v77, v27, v77 row_newbcast:1 row_mask:0xf bank_mask:0xf// 000000005C08: 0A9A9AFA FF01511B
	v_mul_f32_dpp v78, v27, v78 row_newbcast:2 row_mask:0xf bank_mask:0xf// 000000005C10: 0A9C9CFA FF01521B
	v_mul_f32_dpp v79, v27, v79 row_newbcast:3 row_mask:0xf bank_mask:0xf// 000000005C18: 0A9E9EFA FF01531B
	v_mul_f32_dpp v80, v27, v80 row_newbcast:4 row_mask:0xf bank_mask:0xf// 000000005C20: 0AA0A0FA FF01541B
	v_mul_f32_dpp v81, v27, v81 row_newbcast:5 row_mask:0xf bank_mask:0xf// 000000005C28: 0AA2A2FA FF01551B
	v_mul_f32_dpp v82, v27, v82 row_newbcast:6 row_mask:0xf bank_mask:0xf// 000000005C30: 0AA4A4FA FF01561B
	v_mul_f32_dpp v83, v27, v83 row_newbcast:7 row_mask:0xf bank_mask:0xf// 000000005C38: 0AA6A6FA FF01571B
	v_mul_f32_dpp v84, v27, v84 row_newbcast:8 row_mask:0xf bank_mask:0xf// 000000005C40: 0AA8A8FA FF01581B
	v_mul_f32_dpp v85, v27, v85 row_newbcast:9 row_mask:0xf bank_mask:0xf// 000000005C48: 0AAAAAFA FF01591B
	v_mul_f32_dpp v86, v27, v86 row_newbcast:10 row_mask:0xf bank_mask:0xf// 000000005C50: 0AACACFA FF015A1B
	v_mul_f32_dpp v87, v27, v87 row_newbcast:11 row_mask:0xf bank_mask:0xf// 000000005C58: 0AAEAEFA FF015B1B
	v_mul_f32_dpp v88, v27, v88 row_newbcast:12 row_mask:0xf bank_mask:0xf// 000000005C60: 0AB0B0FA FF015C1B
	v_mul_f32_dpp v89, v27, v89 row_newbcast:13 row_mask:0xf bank_mask:0xf// 000000005C68: 0AB2B2FA FF015D1B
	v_mul_f32_dpp v90, v27, v90 row_newbcast:14 row_mask:0xf bank_mask:0xf// 000000005C70: 0AB4B4FA FF015E1B
	v_mul_f32_dpp v91, v27, v91 row_newbcast:15 row_mask:0xf bank_mask:0xf// 000000005C78: 0AB6B6FA FF015F1B
	v_mul_f32_dpp v92, v28, v92 row_newbcast:0 row_mask:0xf bank_mask:0xf// 000000005C80: 0AB8B8FA FF01501C
	v_mul_f32_dpp v93, v28, v93 row_newbcast:1 row_mask:0xf bank_mask:0xf// 000000005C88: 0ABABAFA FF01511C
	v_mul_f32_dpp v94, v28, v94 row_newbcast:2 row_mask:0xf bank_mask:0xf// 000000005C90: 0ABCBCFA FF01521C
	v_mul_f32_dpp v95, v28, v95 row_newbcast:3 row_mask:0xf bank_mask:0xf// 000000005C98: 0ABEBEFA FF01531C
	v_mul_f32_dpp v96, v28, v96 row_newbcast:4 row_mask:0xf bank_mask:0xf// 000000005CA0: 0AC0C0FA FF01541C
	v_mul_f32_dpp v97, v28, v97 row_newbcast:5 row_mask:0xf bank_mask:0xf// 000000005CA8: 0AC2C2FA FF01551C
	v_mul_f32_dpp v98, v28, v98 row_newbcast:6 row_mask:0xf bank_mask:0xf// 000000005CB0: 0AC4C4FA FF01561C
	v_mul_f32_dpp v99, v28, v99 row_newbcast:7 row_mask:0xf bank_mask:0xf// 000000005CB8: 0AC6C6FA FF01571C
	v_mul_f32_dpp v100, v28, v100 row_newbcast:8 row_mask:0xf bank_mask:0xf// 000000005CC0: 0AC8C8FA FF01581C
	v_mul_f32_dpp v101, v28, v101 row_newbcast:9 row_mask:0xf bank_mask:0xf// 000000005CC8: 0ACACAFA FF01591C
	v_mul_f32_dpp v102, v28, v102 row_newbcast:10 row_mask:0xf bank_mask:0xf// 000000005CD0: 0ACCCCFA FF015A1C
	v_mul_f32_dpp v103, v28, v103 row_newbcast:11 row_mask:0xf bank_mask:0xf// 000000005CD8: 0ACECEFA FF015B1C
	v_mul_f32_dpp v104, v28, v104 row_newbcast:12 row_mask:0xf bank_mask:0xf// 000000005CE0: 0AD0D0FA FF015C1C
	v_mul_f32_dpp v105, v28, v105 row_newbcast:13 row_mask:0xf bank_mask:0xf// 000000005CE8: 0AD2D2FA FF015D1C
	v_mul_f32_dpp v106, v28, v106 row_newbcast:14 row_mask:0xf bank_mask:0xf// 000000005CF0: 0AD4D4FA FF015E1C
	v_mul_f32_dpp v107, v28, v107 row_newbcast:15 row_mask:0xf bank_mask:0xf// 000000005CF8: 0AD6D6FA FF015F1C
	v_mul_f32_e32 v30, v30, v108                               // 000000005D00: 0A3CD91E
	v_mov_b32_e32 v4, v30                                      // 000000005D04: 7E08031E
	v_mov_b32_e32 v5, v4                                       // 000000005D08: 7E0A0304
	v_pk_mul_f32 v[44:45], v[4:5], v[44:45]                    // 000000005D0C: D3B1402C 18025904
	v_pk_mul_f32 v[76:77], v[4:5], v[76:77]                    // 000000005D14: D3B1404C 18029904
	v_pk_mul_f32 v[46:47], v[4:5], v[46:47]                    // 000000005D1C: D3B1402E 18025D04
	v_pk_mul_f32 v[78:79], v[4:5], v[78:79]                    // 000000005D24: D3B1404E 18029D04
	v_pk_mul_f32 v[48:49], v[4:5], v[48:49]                    // 000000005D2C: D3B14030 18026104
	v_pk_mul_f32 v[80:81], v[4:5], v[80:81]                    // 000000005D34: D3B14050 1802A104
	v_pk_mul_f32 v[50:51], v[4:5], v[50:51]                    // 000000005D3C: D3B14032 18026504
	v_pk_mul_f32 v[82:83], v[4:5], v[82:83]                    // 000000005D44: D3B14052 1802A504
	v_pk_mul_f32 v[52:53], v[4:5], v[52:53]                    // 000000005D4C: D3B14034 18026904
	v_pk_mul_f32 v[84:85], v[4:5], v[84:85]                    // 000000005D54: D3B14054 1802A904
	v_pk_mul_f32 v[54:55], v[4:5], v[54:55]                    // 000000005D5C: D3B14036 18026D04
	v_pk_mul_f32 v[86:87], v[4:5], v[86:87]                    // 000000005D64: D3B14056 1802AD04
	v_pk_mul_f32 v[56:57], v[4:5], v[56:57]                    // 000000005D6C: D3B14038 18027104
	v_pk_mul_f32 v[88:89], v[4:5], v[88:89]                    // 000000005D74: D3B14058 1802B104
	v_pk_mul_f32 v[58:59], v[4:5], v[58:59]                    // 000000005D7C: D3B1403A 18027504
	v_pk_mul_f32 v[90:91], v[4:5], v[90:91]                    // 000000005D84: D3B1405A 1802B504
	v_pk_mul_f32 v[60:61], v[4:5], v[60:61]                    // 000000005D8C: D3B1403C 18027904
	v_pk_mul_f32 v[92:93], v[4:5], v[92:93]                    // 000000005D94: D3B1405C 1802B904
	v_pk_mul_f32 v[62:63], v[4:5], v[62:63]                    // 000000005D9C: D3B1403E 18027D04
	v_pk_mul_f32 v[94:95], v[4:5], v[94:95]                    // 000000005DA4: D3B1405E 1802BD04
	v_pk_mul_f32 v[64:65], v[4:5], v[64:65]                    // 000000005DAC: D3B14040 18028104
	v_pk_mul_f32 v[96:97], v[4:5], v[96:97]                    // 000000005DB4: D3B14060 1802C104
	v_pk_mul_f32 v[66:67], v[4:5], v[66:67]                    // 000000005DBC: D3B14042 18028504
	v_pk_mul_f32 v[98:99], v[4:5], v[98:99]                    // 000000005DC4: D3B14062 1802C504
	v_pk_mul_f32 v[68:69], v[4:5], v[68:69]                    // 000000005DCC: D3B14044 18028904
	v_pk_mul_f32 v[100:101], v[4:5], v[100:101]                // 000000005DD4: D3B14064 1802C904
	v_pk_mul_f32 v[70:71], v[4:5], v[70:71]                    // 000000005DDC: D3B14046 18028D04
	v_pk_mul_f32 v[102:103], v[4:5], v[102:103]                // 000000005DE4: D3B14066 1802CD04
	v_pk_mul_f32 v[72:73], v[4:5], v[72:73]                    // 000000005DEC: D3B14048 18029104
	v_pk_mul_f32 v[104:105], v[4:5], v[104:105]                // 000000005DF4: D3B14068 1802D104
	v_pk_mul_f32 v[74:75], v[4:5], v[74:75]                    // 000000005DFC: D3B1404A 18029504
	v_pk_mul_f32 v[106:107], v[4:5], v[106:107]                // 000000005E04: D3B1406A 1802D504
	s_cmp_eq_u32 s88, 0                                        // 000000005E0C: BF068058
	s_cbranch_scc0 label_10E5                                  // 000000005E10: BF8403DD
	s_cmp_eq_u32 s89, 0                                        // 000000005E14: BF068059
	s_cbranch_scc1 label_0E4F                                  // 000000005E18: BF850145
	v_mov_b32_e32 v8, v1                                       // 000000005E1C: 7E100301
	v_mov_b32_e32 v9, v1                                       // 000000005E20: 7E120301
	s_mov_b32 s60, s6                                          // 000000005E24: BEBC0006
	s_mov_b32 s61, s6                                          // 000000005E28: BEBD0006
	v_pk_mul_f32 v[4:5], v[44:45], v[44:45]                    // 000000005E2C: D3B14004 1802592C
	v_pk_mul_f32 v[6:7], v[46:47], v[46:47]                    // 000000005E34: D3B14006 18025D2E
	v_pk_fma_f32 v[4:5], v[4:5], s[78:79], v[8:9]              // 000000005E3C: D3B04004 1C209D04
	v_pk_fma_f32 v[6:7], v[6:7], s[78:79], v[8:9]              // 000000005E44: D3B04006 1C209D06
	v_pk_mul_f32 v[4:5], v[4:5], v[44:45]                      // 000000005E4C: D3B14004 18025904
	v_pk_mul_f32 v[6:7], v[6:7], v[46:47]                      // 000000005E54: D3B14006 18025D06
	v_pk_mul_f32 v[4:5], v[4:5], s[60:61]                      // 000000005E5C: D3B14004 18007904
	v_pk_mul_f32 v[6:7], v[6:7], s[60:61]                      // 000000005E64: D3B14006 18007906
	v_exp_f32_e32 v4, v4                                       // 000000005E6C: 7E084104
	v_exp_f32_e32 v5, v5                                       // 000000005E70: 7E0A4105
	v_exp_f32_e32 v6, v6                                       // 000000005E74: 7E0C4106
	v_exp_f32_e32 v7, v7                                       // 000000005E78: 7E0E4107
	v_add_f32_e64 v4, v4, 1.0                                  // 000000005E7C: D1010004 0001E504
	v_add_f32_e64 v5, v5, 1.0                                  // 000000005E84: D1010005 0001E505
	v_add_f32_e64 v6, v6, 1.0                                  // 000000005E8C: D1010006 0001E506
	v_add_f32_e64 v7, v7, 1.0                                  // 000000005E94: D1010007 0001E507
	v_rcp_f32_e32 v4, v4                                       // 000000005E9C: 7E084504
	v_rcp_f32_e32 v5, v5                                       // 000000005EA0: 7E0A4505
	v_rcp_f32_e32 v6, v6                                       // 000000005EA4: 7E0C4506
	v_rcp_f32_e32 v7, v7                                       // 000000005EA8: 7E0E4507
	v_mul_f32_e32 v44, v44, v4                                 // 000000005EAC: 0A58092C
	v_mul_f32_e32 v45, v45, v5                                 // 000000005EB0: 0A5A0B2D
	v_mul_f32_e32 v46, v46, v6                                 // 000000005EB4: 0A5C0D2E
	v_mul_f32_e32 v47, v47, v7                                 // 000000005EB8: 0A5E0F2F
	v_mul_f32_e32 v44, v44, v76                                // 000000005EBC: 0A58992C
	v_mul_f32_e32 v45, v45, v77                                // 000000005EC0: 0A5A9B2D
	v_mul_f32_e32 v46, v46, v78                                // 000000005EC4: 0A5C9D2E
	v_mul_f32_e32 v47, v47, v79                                // 000000005EC8: 0A5E9F2F
	v_pk_mul_f32 v[4:5], v[48:49], v[48:49]                    // 000000005ECC: D3B14004 18026130
	v_pk_mul_f32 v[6:7], v[50:51], v[50:51]                    // 000000005ED4: D3B14006 18026532
	v_pk_fma_f32 v[4:5], v[4:5], s[78:79], v[8:9]              // 000000005EDC: D3B04004 1C209D04
	v_pk_fma_f32 v[6:7], v[6:7], s[78:79], v[8:9]              // 000000005EE4: D3B04006 1C209D06
	v_pk_mul_f32 v[4:5], v[4:5], v[48:49]                      // 000000005EEC: D3B14004 18026104
	v_pk_mul_f32 v[6:7], v[6:7], v[50:51]                      // 000000005EF4: D3B14006 18026506
	v_pk_mul_f32 v[4:5], v[4:5], s[60:61]                      // 000000005EFC: D3B14004 18007904
	v_pk_mul_f32 v[6:7], v[6:7], s[60:61]                      // 000000005F04: D3B14006 18007906
	v_exp_f32_e32 v4, v4                                       // 000000005F0C: 7E084104
	v_exp_f32_e32 v5, v5                                       // 000000005F10: 7E0A4105
	v_exp_f32_e32 v6, v6                                       // 000000005F14: 7E0C4106
	v_exp_f32_e32 v7, v7                                       // 000000005F18: 7E0E4107
	v_add_f32_e64 v4, v4, 1.0                                  // 000000005F1C: D1010004 0001E504
	v_add_f32_e64 v5, v5, 1.0                                  // 000000005F24: D1010005 0001E505
	v_add_f32_e64 v6, v6, 1.0                                  // 000000005F2C: D1010006 0001E506
	v_add_f32_e64 v7, v7, 1.0                                  // 000000005F34: D1010007 0001E507
	v_rcp_f32_e32 v4, v4                                       // 000000005F3C: 7E084504
	v_rcp_f32_e32 v5, v5                                       // 000000005F40: 7E0A4505
	v_rcp_f32_e32 v6, v6                                       // 000000005F44: 7E0C4506
	v_rcp_f32_e32 v7, v7                                       // 000000005F48: 7E0E4507
	v_mul_f32_e32 v48, v48, v4                                 // 000000005F4C: 0A600930
	v_mul_f32_e32 v49, v49, v5                                 // 000000005F50: 0A620B31
	v_mul_f32_e32 v50, v50, v6                                 // 000000005F54: 0A640D32
	v_mul_f32_e32 v51, v51, v7                                 // 000000005F58: 0A660F33
	v_mul_f32_e32 v48, v48, v80                                // 000000005F5C: 0A60A130
	v_mul_f32_e32 v49, v49, v81                                // 000000005F60: 0A62A331
	v_mul_f32_e32 v50, v50, v82                                // 000000005F64: 0A64A532
	v_mul_f32_e32 v51, v51, v83                                // 000000005F68: 0A66A733
	v_pk_mul_f32 v[4:5], v[52:53], v[52:53]                    // 000000005F6C: D3B14004 18026934
	v_pk_mul_f32 v[6:7], v[54:55], v[54:55]                    // 000000005F74: D3B14006 18026D36
	v_pk_fma_f32 v[4:5], v[4:5], s[78:79], v[8:9]              // 000000005F7C: D3B04004 1C209D04
	v_pk_fma_f32 v[6:7], v[6:7], s[78:79], v[8:9]              // 000000005F84: D3B04006 1C209D06
	v_pk_mul_f32 v[4:5], v[4:5], v[52:53]                      // 000000005F8C: D3B14004 18026904
	v_pk_mul_f32 v[6:7], v[6:7], v[54:55]                      // 000000005F94: D3B14006 18026D06
	v_pk_mul_f32 v[4:5], v[4:5], s[60:61]                      // 000000005F9C: D3B14004 18007904
	v_pk_mul_f32 v[6:7], v[6:7], s[60:61]                      // 000000005FA4: D3B14006 18007906
	v_exp_f32_e32 v4, v4                                       // 000000005FAC: 7E084104
	v_exp_f32_e32 v5, v5                                       // 000000005FB0: 7E0A4105
	v_exp_f32_e32 v6, v6                                       // 000000005FB4: 7E0C4106
	v_exp_f32_e32 v7, v7                                       // 000000005FB8: 7E0E4107
	v_add_f32_e64 v4, v4, 1.0                                  // 000000005FBC: D1010004 0001E504
	v_add_f32_e64 v5, v5, 1.0                                  // 000000005FC4: D1010005 0001E505
	v_add_f32_e64 v6, v6, 1.0                                  // 000000005FCC: D1010006 0001E506
	v_add_f32_e64 v7, v7, 1.0                                  // 000000005FD4: D1010007 0001E507
	v_rcp_f32_e32 v4, v4                                       // 000000005FDC: 7E084504
	v_rcp_f32_e32 v5, v5                                       // 000000005FE0: 7E0A4505
	v_rcp_f32_e32 v6, v6                                       // 000000005FE4: 7E0C4506
	v_rcp_f32_e32 v7, v7                                       // 000000005FE8: 7E0E4507
	v_mul_f32_e32 v52, v52, v4                                 // 000000005FEC: 0A680934
	v_mul_f32_e32 v53, v53, v5                                 // 000000005FF0: 0A6A0B35
	v_mul_f32_e32 v54, v54, v6                                 // 000000005FF4: 0A6C0D36
	v_mul_f32_e32 v55, v55, v7                                 // 000000005FF8: 0A6E0F37
	v_mul_f32_e32 v52, v52, v84                                // 000000005FFC: 0A68A934
	v_mul_f32_e32 v53, v53, v85                                // 000000006000: 0A6AAB35
	v_mul_f32_e32 v54, v54, v86                                // 000000006004: 0A6CAD36
	v_mul_f32_e32 v55, v55, v87                                // 000000006008: 0A6EAF37
	v_pk_mul_f32 v[4:5], v[56:57], v[56:57]                    // 00000000600C: D3B14004 18027138
	v_pk_mul_f32 v[6:7], v[58:59], v[58:59]                    // 000000006014: D3B14006 1802753A
	v_pk_fma_f32 v[4:5], v[4:5], s[78:79], v[8:9]              // 00000000601C: D3B04004 1C209D04
	v_pk_fma_f32 v[6:7], v[6:7], s[78:79], v[8:9]              // 000000006024: D3B04006 1C209D06
	v_pk_mul_f32 v[4:5], v[4:5], v[56:57]                      // 00000000602C: D3B14004 18027104
	v_pk_mul_f32 v[6:7], v[6:7], v[58:59]                      // 000000006034: D3B14006 18027506
	v_pk_mul_f32 v[4:5], v[4:5], s[60:61]                      // 00000000603C: D3B14004 18007904
	v_pk_mul_f32 v[6:7], v[6:7], s[60:61]                      // 000000006044: D3B14006 18007906
	v_exp_f32_e32 v4, v4                                       // 00000000604C: 7E084104
	v_exp_f32_e32 v5, v5                                       // 000000006050: 7E0A4105
	v_exp_f32_e32 v6, v6                                       // 000000006054: 7E0C4106
	v_exp_f32_e32 v7, v7                                       // 000000006058: 7E0E4107
	v_add_f32_e64 v4, v4, 1.0                                  // 00000000605C: D1010004 0001E504
	v_add_f32_e64 v5, v5, 1.0                                  // 000000006064: D1010005 0001E505
	v_add_f32_e64 v6, v6, 1.0                                  // 00000000606C: D1010006 0001E506
	v_add_f32_e64 v7, v7, 1.0                                  // 000000006074: D1010007 0001E507
	v_rcp_f32_e32 v4, v4                                       // 00000000607C: 7E084504
	v_rcp_f32_e32 v5, v5                                       // 000000006080: 7E0A4505
	v_rcp_f32_e32 v6, v6                                       // 000000006084: 7E0C4506
	v_rcp_f32_e32 v7, v7                                       // 000000006088: 7E0E4507
	v_mul_f32_e32 v56, v56, v4                                 // 00000000608C: 0A700938
	v_mul_f32_e32 v57, v57, v5                                 // 000000006090: 0A720B39
	v_mul_f32_e32 v58, v58, v6                                 // 000000006094: 0A740D3A
	v_mul_f32_e32 v59, v59, v7                                 // 000000006098: 0A760F3B
	v_mul_f32_e32 v56, v56, v88                                // 00000000609C: 0A70B138
	v_mul_f32_e32 v57, v57, v89                                // 0000000060A0: 0A72B339
	v_mul_f32_e32 v58, v58, v90                                // 0000000060A4: 0A74B53A
	v_mul_f32_e32 v59, v59, v91                                // 0000000060A8: 0A76B73B
	v_pk_mul_f32 v[4:5], v[60:61], v[60:61]                    // 0000000060AC: D3B14004 1802793C
	v_pk_mul_f32 v[6:7], v[62:63], v[62:63]                    // 0000000060B4: D3B14006 18027D3E
	v_pk_fma_f32 v[4:5], v[4:5], s[78:79], v[8:9]              // 0000000060BC: D3B04004 1C209D04
	v_pk_fma_f32 v[6:7], v[6:7], s[78:79], v[8:9]              // 0000000060C4: D3B04006 1C209D06
	v_pk_mul_f32 v[4:5], v[4:5], v[60:61]                      // 0000000060CC: D3B14004 18027904
	v_pk_mul_f32 v[6:7], v[6:7], v[62:63]                      // 0000000060D4: D3B14006 18027D06
	v_pk_mul_f32 v[4:5], v[4:5], s[60:61]                      // 0000000060DC: D3B14004 18007904
	v_pk_mul_f32 v[6:7], v[6:7], s[60:61]                      // 0000000060E4: D3B14006 18007906
	v_exp_f32_e32 v4, v4                                       // 0000000060EC: 7E084104
	v_exp_f32_e32 v5, v5                                       // 0000000060F0: 7E0A4105
	v_exp_f32_e32 v6, v6                                       // 0000000060F4: 7E0C4106
	v_exp_f32_e32 v7, v7                                       // 0000000060F8: 7E0E4107
	v_add_f32_e64 v4, v4, 1.0                                  // 0000000060FC: D1010004 0001E504
	v_add_f32_e64 v5, v5, 1.0                                  // 000000006104: D1010005 0001E505
	v_add_f32_e64 v6, v6, 1.0                                  // 00000000610C: D1010006 0001E506
	v_add_f32_e64 v7, v7, 1.0                                  // 000000006114: D1010007 0001E507
	v_rcp_f32_e32 v4, v4                                       // 00000000611C: 7E084504
	v_rcp_f32_e32 v5, v5                                       // 000000006120: 7E0A4505
	v_rcp_f32_e32 v6, v6                                       // 000000006124: 7E0C4506
	v_rcp_f32_e32 v7, v7                                       // 000000006128: 7E0E4507
	v_mul_f32_e32 v60, v60, v4                                 // 00000000612C: 0A78093C
	v_mul_f32_e32 v61, v61, v5                                 // 000000006130: 0A7A0B3D
	v_mul_f32_e32 v62, v62, v6                                 // 000000006134: 0A7C0D3E
	v_mul_f32_e32 v63, v63, v7                                 // 000000006138: 0A7E0F3F
	v_mul_f32_e32 v60, v60, v92                                // 00000000613C: 0A78B93C
	v_mul_f32_e32 v61, v61, v93                                // 000000006140: 0A7ABB3D
	v_mul_f32_e32 v62, v62, v94                                // 000000006144: 0A7CBD3E
	v_mul_f32_e32 v63, v63, v95                                // 000000006148: 0A7EBF3F
	v_pk_mul_f32 v[4:5], v[64:65], v[64:65]                    // 00000000614C: D3B14004 18028140
	v_pk_mul_f32 v[6:7], v[66:67], v[66:67]                    // 000000006154: D3B14006 18028542
	v_pk_fma_f32 v[4:5], v[4:5], s[78:79], v[8:9]              // 00000000615C: D3B04004 1C209D04
	v_pk_fma_f32 v[6:7], v[6:7], s[78:79], v[8:9]              // 000000006164: D3B04006 1C209D06
	v_pk_mul_f32 v[4:5], v[4:5], v[64:65]                      // 00000000616C: D3B14004 18028104
	v_pk_mul_f32 v[6:7], v[6:7], v[66:67]                      // 000000006174: D3B14006 18028506
	v_pk_mul_f32 v[4:5], v[4:5], s[60:61]                      // 00000000617C: D3B14004 18007904
	v_pk_mul_f32 v[6:7], v[6:7], s[60:61]                      // 000000006184: D3B14006 18007906
	v_exp_f32_e32 v4, v4                                       // 00000000618C: 7E084104
	v_exp_f32_e32 v5, v5                                       // 000000006190: 7E0A4105
	v_exp_f32_e32 v6, v6                                       // 000000006194: 7E0C4106
	v_exp_f32_e32 v7, v7                                       // 000000006198: 7E0E4107
	v_add_f32_e64 v4, v4, 1.0                                  // 00000000619C: D1010004 0001E504
	v_add_f32_e64 v5, v5, 1.0                                  // 0000000061A4: D1010005 0001E505
	v_add_f32_e64 v6, v6, 1.0                                  // 0000000061AC: D1010006 0001E506
	v_add_f32_e64 v7, v7, 1.0                                  // 0000000061B4: D1010007 0001E507
	v_rcp_f32_e32 v4, v4                                       // 0000000061BC: 7E084504
	v_rcp_f32_e32 v5, v5                                       // 0000000061C0: 7E0A4505
	v_rcp_f32_e32 v6, v6                                       // 0000000061C4: 7E0C4506
	v_rcp_f32_e32 v7, v7                                       // 0000000061C8: 7E0E4507
	v_mul_f32_e32 v64, v64, v4                                 // 0000000061CC: 0A800940
	v_mul_f32_e32 v65, v65, v5                                 // 0000000061D0: 0A820B41
	v_mul_f32_e32 v66, v66, v6                                 // 0000000061D4: 0A840D42
	v_mul_f32_e32 v67, v67, v7                                 // 0000000061D8: 0A860F43
	v_mul_f32_e32 v64, v64, v96                                // 0000000061DC: 0A80C140
	v_mul_f32_e32 v65, v65, v97                                // 0000000061E0: 0A82C341
	v_mul_f32_e32 v66, v66, v98                                // 0000000061E4: 0A84C542
	v_mul_f32_e32 v67, v67, v99                                // 0000000061E8: 0A86C743
	v_pk_mul_f32 v[4:5], v[68:69], v[68:69]                    // 0000000061EC: D3B14004 18028944
	v_pk_mul_f32 v[6:7], v[70:71], v[70:71]                    // 0000000061F4: D3B14006 18028D46
	v_pk_fma_f32 v[4:5], v[4:5], s[78:79], v[8:9]              // 0000000061FC: D3B04004 1C209D04
	v_pk_fma_f32 v[6:7], v[6:7], s[78:79], v[8:9]              // 000000006204: D3B04006 1C209D06
	v_pk_mul_f32 v[4:5], v[4:5], v[68:69]                      // 00000000620C: D3B14004 18028904
	v_pk_mul_f32 v[6:7], v[6:7], v[70:71]                      // 000000006214: D3B14006 18028D06
	v_pk_mul_f32 v[4:5], v[4:5], s[60:61]                      // 00000000621C: D3B14004 18007904
	v_pk_mul_f32 v[6:7], v[6:7], s[60:61]                      // 000000006224: D3B14006 18007906
	v_exp_f32_e32 v4, v4                                       // 00000000622C: 7E084104
	v_exp_f32_e32 v5, v5                                       // 000000006230: 7E0A4105
	v_exp_f32_e32 v6, v6                                       // 000000006234: 7E0C4106
	v_exp_f32_e32 v7, v7                                       // 000000006238: 7E0E4107
	v_add_f32_e64 v4, v4, 1.0                                  // 00000000623C: D1010004 0001E504
	v_add_f32_e64 v5, v5, 1.0                                  // 000000006244: D1010005 0001E505
	v_add_f32_e64 v6, v6, 1.0                                  // 00000000624C: D1010006 0001E506
	v_add_f32_e64 v7, v7, 1.0                                  // 000000006254: D1010007 0001E507
	v_rcp_f32_e32 v4, v4                                       // 00000000625C: 7E084504
	v_rcp_f32_e32 v5, v5                                       // 000000006260: 7E0A4505
	v_rcp_f32_e32 v6, v6                                       // 000000006264: 7E0C4506
	v_rcp_f32_e32 v7, v7                                       // 000000006268: 7E0E4507
	v_mul_f32_e32 v68, v68, v4                                 // 00000000626C: 0A880944
	v_mul_f32_e32 v69, v69, v5                                 // 000000006270: 0A8A0B45
	v_mul_f32_e32 v70, v70, v6                                 // 000000006274: 0A8C0D46
	v_mul_f32_e32 v71, v71, v7                                 // 000000006278: 0A8E0F47
	v_mul_f32_e32 v68, v68, v100                               // 00000000627C: 0A88C944
	v_mul_f32_e32 v69, v69, v101                               // 000000006280: 0A8ACB45
	v_mul_f32_e32 v70, v70, v102                               // 000000006284: 0A8CCD46
	v_mul_f32_e32 v71, v71, v103                               // 000000006288: 0A8ECF47
	v_pk_mul_f32 v[4:5], v[72:73], v[72:73]                    // 00000000628C: D3B14004 18029148
	v_pk_mul_f32 v[6:7], v[74:75], v[74:75]                    // 000000006294: D3B14006 1802954A
	v_pk_fma_f32 v[4:5], v[4:5], s[78:79], v[8:9]              // 00000000629C: D3B04004 1C209D04
	v_pk_fma_f32 v[6:7], v[6:7], s[78:79], v[8:9]              // 0000000062A4: D3B04006 1C209D06
	v_pk_mul_f32 v[4:5], v[4:5], v[72:73]                      // 0000000062AC: D3B14004 18029104
	v_pk_mul_f32 v[6:7], v[6:7], v[74:75]                      // 0000000062B4: D3B14006 18029506
	v_pk_mul_f32 v[4:5], v[4:5], s[60:61]                      // 0000000062BC: D3B14004 18007904
	v_pk_mul_f32 v[6:7], v[6:7], s[60:61]                      // 0000000062C4: D3B14006 18007906
	v_exp_f32_e32 v4, v4                                       // 0000000062CC: 7E084104
	v_exp_f32_e32 v5, v5                                       // 0000000062D0: 7E0A4105
	v_exp_f32_e32 v6, v6                                       // 0000000062D4: 7E0C4106
	v_exp_f32_e32 v7, v7                                       // 0000000062D8: 7E0E4107
	v_add_f32_e64 v4, v4, 1.0                                  // 0000000062DC: D1010004 0001E504
	v_add_f32_e64 v5, v5, 1.0                                  // 0000000062E4: D1010005 0001E505
	v_add_f32_e64 v6, v6, 1.0                                  // 0000000062EC: D1010006 0001E506
	v_add_f32_e64 v7, v7, 1.0                                  // 0000000062F4: D1010007 0001E507
	v_rcp_f32_e32 v4, v4                                       // 0000000062FC: 7E084504
	v_rcp_f32_e32 v5, v5                                       // 000000006300: 7E0A4505
	v_rcp_f32_e32 v6, v6                                       // 000000006304: 7E0C4506
	v_rcp_f32_e32 v7, v7                                       // 000000006308: 7E0E4507
	v_mul_f32_e32 v72, v72, v4                                 // 00000000630C: 0A900948
	v_mul_f32_e32 v73, v73, v5                                 // 000000006310: 0A920B49
	v_mul_f32_e32 v74, v74, v6                                 // 000000006314: 0A940D4A
	v_mul_f32_e32 v75, v75, v7                                 // 000000006318: 0A960F4B
	v_mul_f32_e32 v72, v72, v104                               // 00000000631C: 0A90D148
	v_mul_f32_e32 v73, v73, v105                               // 000000006320: 0A92D349
	v_mul_f32_e32 v74, v74, v106                               // 000000006324: 0A94D54A
	v_mul_f32_e32 v75, v75, v107                               // 000000006328: 0A96D74B
	s_branch label_0F4F                                        // 00000000632C: BF820100

0000000000006330 <label_0E4F>:
	v_mul_f32_e64 v4, -v44, s6                                 // 000000006330: D1050004 20000D2C
	v_mul_f32_e64 v5, -v45, s6                                 // 000000006338: D1050005 20000D2D
	v_mul_f32_e64 v6, -v46, s6                                 // 000000006340: D1050006 20000D2E
	v_mul_f32_e64 v7, -v47, s6                                 // 000000006348: D1050007 20000D2F
	v_exp_f32_e32 v4, v4                                       // 000000006350: 7E084104
	v_exp_f32_e32 v5, v5                                       // 000000006354: 7E0A4105
	v_exp_f32_e32 v6, v6                                       // 000000006358: 7E0C4106
	v_exp_f32_e32 v7, v7                                       // 00000000635C: 7E0E4107
	v_add_f32_e64 v4, v4, 1.0                                  // 000000006360: D1010004 0001E504
	v_add_f32_e64 v5, v5, 1.0                                  // 000000006368: D1010005 0001E505
	v_add_f32_e64 v6, v6, 1.0                                  // 000000006370: D1010006 0001E506
	v_add_f32_e64 v7, v7, 1.0                                  // 000000006378: D1010007 0001E507
	v_rcp_f32_e32 v4, v4                                       // 000000006380: 7E084504
	v_rcp_f32_e32 v5, v5                                       // 000000006384: 7E0A4505
	v_rcp_f32_e32 v6, v6                                       // 000000006388: 7E0C4506
	v_rcp_f32_e32 v7, v7                                       // 00000000638C: 7E0E4507
	v_mul_f32_e32 v44, v44, v4                                 // 000000006390: 0A58092C
	v_mul_f32_e32 v45, v45, v5                                 // 000000006394: 0A5A0B2D
	v_mul_f32_e32 v46, v46, v6                                 // 000000006398: 0A5C0D2E
	v_mul_f32_e32 v47, v47, v7                                 // 00000000639C: 0A5E0F2F
	v_mul_f32_e32 v44, v44, v76                                // 0000000063A0: 0A58992C
	v_mul_f32_e32 v45, v45, v77                                // 0000000063A4: 0A5A9B2D
	v_mul_f32_e32 v46, v46, v78                                // 0000000063A8: 0A5C9D2E
	v_mul_f32_e32 v47, v47, v79                                // 0000000063AC: 0A5E9F2F
	v_mul_f32_e64 v4, -v48, s6                                 // 0000000063B0: D1050004 20000D30
	v_mul_f32_e64 v5, -v49, s6                                 // 0000000063B8: D1050005 20000D31
	v_mul_f32_e64 v6, -v50, s6                                 // 0000000063C0: D1050006 20000D32
	v_mul_f32_e64 v7, -v51, s6                                 // 0000000063C8: D1050007 20000D33
	v_exp_f32_e32 v4, v4                                       // 0000000063D0: 7E084104
	v_exp_f32_e32 v5, v5                                       // 0000000063D4: 7E0A4105
	v_exp_f32_e32 v6, v6                                       // 0000000063D8: 7E0C4106
	v_exp_f32_e32 v7, v7                                       // 0000000063DC: 7E0E4107
	v_add_f32_e64 v4, v4, 1.0                                  // 0000000063E0: D1010004 0001E504
	v_add_f32_e64 v5, v5, 1.0                                  // 0000000063E8: D1010005 0001E505
	v_add_f32_e64 v6, v6, 1.0                                  // 0000000063F0: D1010006 0001E506
	v_add_f32_e64 v7, v7, 1.0                                  // 0000000063F8: D1010007 0001E507
	v_rcp_f32_e32 v4, v4                                       // 000000006400: 7E084504
	v_rcp_f32_e32 v5, v5                                       // 000000006404: 7E0A4505
	v_rcp_f32_e32 v6, v6                                       // 000000006408: 7E0C4506
	v_rcp_f32_e32 v7, v7                                       // 00000000640C: 7E0E4507
	v_mul_f32_e32 v48, v48, v4                                 // 000000006410: 0A600930
	v_mul_f32_e32 v49, v49, v5                                 // 000000006414: 0A620B31
	v_mul_f32_e32 v50, v50, v6                                 // 000000006418: 0A640D32
	v_mul_f32_e32 v51, v51, v7                                 // 00000000641C: 0A660F33
	v_mul_f32_e32 v48, v48, v80                                // 000000006420: 0A60A130
	v_mul_f32_e32 v49, v49, v81                                // 000000006424: 0A62A331
	v_mul_f32_e32 v50, v50, v82                                // 000000006428: 0A64A532
	v_mul_f32_e32 v51, v51, v83                                // 00000000642C: 0A66A733
	v_mul_f32_e64 v4, -v52, s6                                 // 000000006430: D1050004 20000D34
	v_mul_f32_e64 v5, -v53, s6                                 // 000000006438: D1050005 20000D35
	v_mul_f32_e64 v6, -v54, s6                                 // 000000006440: D1050006 20000D36
	v_mul_f32_e64 v7, -v55, s6                                 // 000000006448: D1050007 20000D37
	v_exp_f32_e32 v4, v4                                       // 000000006450: 7E084104
	v_exp_f32_e32 v5, v5                                       // 000000006454: 7E0A4105
	v_exp_f32_e32 v6, v6                                       // 000000006458: 7E0C4106
	v_exp_f32_e32 v7, v7                                       // 00000000645C: 7E0E4107
	v_add_f32_e64 v4, v4, 1.0                                  // 000000006460: D1010004 0001E504
	v_add_f32_e64 v5, v5, 1.0                                  // 000000006468: D1010005 0001E505
	v_add_f32_e64 v6, v6, 1.0                                  // 000000006470: D1010006 0001E506
	v_add_f32_e64 v7, v7, 1.0                                  // 000000006478: D1010007 0001E507
	v_rcp_f32_e32 v4, v4                                       // 000000006480: 7E084504
	v_rcp_f32_e32 v5, v5                                       // 000000006484: 7E0A4505
	v_rcp_f32_e32 v6, v6                                       // 000000006488: 7E0C4506
	v_rcp_f32_e32 v7, v7                                       // 00000000648C: 7E0E4507
	v_mul_f32_e32 v52, v52, v4                                 // 000000006490: 0A680934
	v_mul_f32_e32 v53, v53, v5                                 // 000000006494: 0A6A0B35
	v_mul_f32_e32 v54, v54, v6                                 // 000000006498: 0A6C0D36
	v_mul_f32_e32 v55, v55, v7                                 // 00000000649C: 0A6E0F37
	v_mul_f32_e32 v52, v52, v84                                // 0000000064A0: 0A68A934
	v_mul_f32_e32 v53, v53, v85                                // 0000000064A4: 0A6AAB35
	v_mul_f32_e32 v54, v54, v86                                // 0000000064A8: 0A6CAD36
	v_mul_f32_e32 v55, v55, v87                                // 0000000064AC: 0A6EAF37
	v_mul_f32_e64 v4, -v56, s6                                 // 0000000064B0: D1050004 20000D38
	v_mul_f32_e64 v5, -v57, s6                                 // 0000000064B8: D1050005 20000D39
	v_mul_f32_e64 v6, -v58, s6                                 // 0000000064C0: D1050006 20000D3A
	v_mul_f32_e64 v7, -v59, s6                                 // 0000000064C8: D1050007 20000D3B
	v_exp_f32_e32 v4, v4                                       // 0000000064D0: 7E084104
	v_exp_f32_e32 v5, v5                                       // 0000000064D4: 7E0A4105
	v_exp_f32_e32 v6, v6                                       // 0000000064D8: 7E0C4106
	v_exp_f32_e32 v7, v7                                       // 0000000064DC: 7E0E4107
	v_add_f32_e64 v4, v4, 1.0                                  // 0000000064E0: D1010004 0001E504
	v_add_f32_e64 v5, v5, 1.0                                  // 0000000064E8: D1010005 0001E505
	v_add_f32_e64 v6, v6, 1.0                                  // 0000000064F0: D1010006 0001E506
	v_add_f32_e64 v7, v7, 1.0                                  // 0000000064F8: D1010007 0001E507
	v_rcp_f32_e32 v4, v4                                       // 000000006500: 7E084504
	v_rcp_f32_e32 v5, v5                                       // 000000006504: 7E0A4505
	v_rcp_f32_e32 v6, v6                                       // 000000006508: 7E0C4506
	v_rcp_f32_e32 v7, v7                                       // 00000000650C: 7E0E4507
	v_mul_f32_e32 v56, v56, v4                                 // 000000006510: 0A700938
	v_mul_f32_e32 v57, v57, v5                                 // 000000006514: 0A720B39
	v_mul_f32_e32 v58, v58, v6                                 // 000000006518: 0A740D3A
	v_mul_f32_e32 v59, v59, v7                                 // 00000000651C: 0A760F3B
	v_mul_f32_e32 v56, v56, v88                                // 000000006520: 0A70B138
	v_mul_f32_e32 v57, v57, v89                                // 000000006524: 0A72B339
	v_mul_f32_e32 v58, v58, v90                                // 000000006528: 0A74B53A
	v_mul_f32_e32 v59, v59, v91                                // 00000000652C: 0A76B73B
	v_mul_f32_e64 v4, -v60, s6                                 // 000000006530: D1050004 20000D3C
	v_mul_f32_e64 v5, -v61, s6                                 // 000000006538: D1050005 20000D3D
	v_mul_f32_e64 v6, -v62, s6                                 // 000000006540: D1050006 20000D3E
	v_mul_f32_e64 v7, -v63, s6                                 // 000000006548: D1050007 20000D3F
	v_exp_f32_e32 v4, v4                                       // 000000006550: 7E084104
	v_exp_f32_e32 v5, v5                                       // 000000006554: 7E0A4105
	v_exp_f32_e32 v6, v6                                       // 000000006558: 7E0C4106
	v_exp_f32_e32 v7, v7                                       // 00000000655C: 7E0E4107
	v_add_f32_e64 v4, v4, 1.0                                  // 000000006560: D1010004 0001E504
	v_add_f32_e64 v5, v5, 1.0                                  // 000000006568: D1010005 0001E505
	v_add_f32_e64 v6, v6, 1.0                                  // 000000006570: D1010006 0001E506
	v_add_f32_e64 v7, v7, 1.0                                  // 000000006578: D1010007 0001E507
	v_rcp_f32_e32 v4, v4                                       // 000000006580: 7E084504
	v_rcp_f32_e32 v5, v5                                       // 000000006584: 7E0A4505
	v_rcp_f32_e32 v6, v6                                       // 000000006588: 7E0C4506
	v_rcp_f32_e32 v7, v7                                       // 00000000658C: 7E0E4507
	v_mul_f32_e32 v60, v60, v4                                 // 000000006590: 0A78093C
	v_mul_f32_e32 v61, v61, v5                                 // 000000006594: 0A7A0B3D
	v_mul_f32_e32 v62, v62, v6                                 // 000000006598: 0A7C0D3E
	v_mul_f32_e32 v63, v63, v7                                 // 00000000659C: 0A7E0F3F
	v_mul_f32_e32 v60, v60, v92                                // 0000000065A0: 0A78B93C
	v_mul_f32_e32 v61, v61, v93                                // 0000000065A4: 0A7ABB3D
	v_mul_f32_e32 v62, v62, v94                                // 0000000065A8: 0A7CBD3E
	v_mul_f32_e32 v63, v63, v95                                // 0000000065AC: 0A7EBF3F
	v_mul_f32_e64 v4, -v64, s6                                 // 0000000065B0: D1050004 20000D40
	v_mul_f32_e64 v5, -v65, s6                                 // 0000000065B8: D1050005 20000D41
	v_mul_f32_e64 v6, -v66, s6                                 // 0000000065C0: D1050006 20000D42
	v_mul_f32_e64 v7, -v67, s6                                 // 0000000065C8: D1050007 20000D43
	v_exp_f32_e32 v4, v4                                       // 0000000065D0: 7E084104
	v_exp_f32_e32 v5, v5                                       // 0000000065D4: 7E0A4105
	v_exp_f32_e32 v6, v6                                       // 0000000065D8: 7E0C4106
	v_exp_f32_e32 v7, v7                                       // 0000000065DC: 7E0E4107
	v_add_f32_e64 v4, v4, 1.0                                  // 0000000065E0: D1010004 0001E504
	v_add_f32_e64 v5, v5, 1.0                                  // 0000000065E8: D1010005 0001E505
	v_add_f32_e64 v6, v6, 1.0                                  // 0000000065F0: D1010006 0001E506
	v_add_f32_e64 v7, v7, 1.0                                  // 0000000065F8: D1010007 0001E507
	v_rcp_f32_e32 v4, v4                                       // 000000006600: 7E084504
	v_rcp_f32_e32 v5, v5                                       // 000000006604: 7E0A4505
	v_rcp_f32_e32 v6, v6                                       // 000000006608: 7E0C4506
	v_rcp_f32_e32 v7, v7                                       // 00000000660C: 7E0E4507
	v_mul_f32_e32 v64, v64, v4                                 // 000000006610: 0A800940
	v_mul_f32_e32 v65, v65, v5                                 // 000000006614: 0A820B41
	v_mul_f32_e32 v66, v66, v6                                 // 000000006618: 0A840D42
	v_mul_f32_e32 v67, v67, v7                                 // 00000000661C: 0A860F43
	v_mul_f32_e32 v64, v64, v96                                // 000000006620: 0A80C140
	v_mul_f32_e32 v65, v65, v97                                // 000000006624: 0A82C341
	v_mul_f32_e32 v66, v66, v98                                // 000000006628: 0A84C542
	v_mul_f32_e32 v67, v67, v99                                // 00000000662C: 0A86C743
	v_mul_f32_e64 v4, -v68, s6                                 // 000000006630: D1050004 20000D44
	v_mul_f32_e64 v5, -v69, s6                                 // 000000006638: D1050005 20000D45
	v_mul_f32_e64 v6, -v70, s6                                 // 000000006640: D1050006 20000D46
	v_mul_f32_e64 v7, -v71, s6                                 // 000000006648: D1050007 20000D47
	v_exp_f32_e32 v4, v4                                       // 000000006650: 7E084104
	v_exp_f32_e32 v5, v5                                       // 000000006654: 7E0A4105
	v_exp_f32_e32 v6, v6                                       // 000000006658: 7E0C4106
	v_exp_f32_e32 v7, v7                                       // 00000000665C: 7E0E4107
	v_add_f32_e64 v4, v4, 1.0                                  // 000000006660: D1010004 0001E504
	v_add_f32_e64 v5, v5, 1.0                                  // 000000006668: D1010005 0001E505
	v_add_f32_e64 v6, v6, 1.0                                  // 000000006670: D1010006 0001E506
	v_add_f32_e64 v7, v7, 1.0                                  // 000000006678: D1010007 0001E507
	v_rcp_f32_e32 v4, v4                                       // 000000006680: 7E084504
	v_rcp_f32_e32 v5, v5                                       // 000000006684: 7E0A4505
	v_rcp_f32_e32 v6, v6                                       // 000000006688: 7E0C4506
	v_rcp_f32_e32 v7, v7                                       // 00000000668C: 7E0E4507
	v_mul_f32_e32 v68, v68, v4                                 // 000000006690: 0A880944
	v_mul_f32_e32 v69, v69, v5                                 // 000000006694: 0A8A0B45
	v_mul_f32_e32 v70, v70, v6                                 // 000000006698: 0A8C0D46
	v_mul_f32_e32 v71, v71, v7                                 // 00000000669C: 0A8E0F47
	v_mul_f32_e32 v68, v68, v100                               // 0000000066A0: 0A88C944
	v_mul_f32_e32 v69, v69, v101                               // 0000000066A4: 0A8ACB45
	v_mul_f32_e32 v70, v70, v102                               // 0000000066A8: 0A8CCD46
	v_mul_f32_e32 v71, v71, v103                               // 0000000066AC: 0A8ECF47
	v_mul_f32_e64 v4, -v72, s6                                 // 0000000066B0: D1050004 20000D48
	v_mul_f32_e64 v5, -v73, s6                                 // 0000000066B8: D1050005 20000D49
	v_mul_f32_e64 v6, -v74, s6                                 // 0000000066C0: D1050006 20000D4A
	v_mul_f32_e64 v7, -v75, s6                                 // 0000000066C8: D1050007 20000D4B
	v_exp_f32_e32 v4, v4                                       // 0000000066D0: 7E084104
	v_exp_f32_e32 v5, v5                                       // 0000000066D4: 7E0A4105
	v_exp_f32_e32 v6, v6                                       // 0000000066D8: 7E0C4106
	v_exp_f32_e32 v7, v7                                       // 0000000066DC: 7E0E4107
	v_add_f32_e64 v4, v4, 1.0                                  // 0000000066E0: D1010004 0001E504
	v_add_f32_e64 v5, v5, 1.0                                  // 0000000066E8: D1010005 0001E505
	v_add_f32_e64 v6, v6, 1.0                                  // 0000000066F0: D1010006 0001E506
	v_add_f32_e64 v7, v7, 1.0                                  // 0000000066F8: D1010007 0001E507
	v_rcp_f32_e32 v4, v4                                       // 000000006700: 7E084504
	v_rcp_f32_e32 v5, v5                                       // 000000006704: 7E0A4505
	v_rcp_f32_e32 v6, v6                                       // 000000006708: 7E0C4506
	v_rcp_f32_e32 v7, v7                                       // 00000000670C: 7E0E4507
	v_mul_f32_e32 v72, v72, v4                                 // 000000006710: 0A900948
	v_mul_f32_e32 v73, v73, v5                                 // 000000006714: 0A920B49
	v_mul_f32_e32 v74, v74, v6                                 // 000000006718: 0A940D4A
	v_mul_f32_e32 v75, v75, v7                                 // 00000000671C: 0A960F4B
	v_mul_f32_e32 v72, v72, v104                               // 000000006720: 0A90D148
	v_mul_f32_e32 v73, v73, v105                               // 000000006724: 0A92D349
	v_mul_f32_e32 v74, v74, v106                               // 000000006728: 0A94D54A
	v_mul_f32_e32 v75, v75, v107                               // 00000000672C: 0A96D74B

0000000000006730 <label_0F4F>:
	v_cmp_u_f32_e64 s[46:47], v44, v44                         // 000000006730: D048002E 0002592C
	v_add3_u32 v16, v44, v19, 1                                // 000000006738: D1FF0010 0206272C
	v_cndmask_b32_e64 v4, v16, v18, s[46:47]                   // 000000006740: D1000004 00BA2510
	v_cmp_u_f32_e64 s[46:47], v45, v45                         // 000000006748: D048002E 00025B2D
	v_add3_u32 v16, v45, v19, 1                                // 000000006750: D1FF0010 0206272D
	v_cndmask_b32_e64 v5, v16, v18, s[46:47]                   // 000000006758: D1000005 00BA2510
	v_perm_b32 v44, v5, v4, s52                                // 000000006760: D1ED002C 00D20905
	v_cmp_u_f32_e64 s[46:47], v46, v46                         // 000000006768: D048002E 00025D2E
	v_add3_u32 v16, v46, v19, 1                                // 000000006770: D1FF0010 0206272E
	v_cndmask_b32_e64 v4, v16, v18, s[46:47]                   // 000000006778: D1000004 00BA2510
	v_cmp_u_f32_e64 s[46:47], v47, v47                         // 000000006780: D048002E 00025F2F
	v_add3_u32 v16, v47, v19, 1                                // 000000006788: D1FF0010 0206272F
	v_cndmask_b32_e64 v5, v16, v18, s[46:47]                   // 000000006790: D1000005 00BA2510
	v_perm_b32 v45, v5, v4, s52                                // 000000006798: D1ED002D 00D20905
	v_cmp_u_f32_e64 s[46:47], v48, v48                         // 0000000067A0: D048002E 00026130
	v_add3_u32 v16, v48, v19, 1                                // 0000000067A8: D1FF0010 02062730
	v_cndmask_b32_e64 v4, v16, v18, s[46:47]                   // 0000000067B0: D1000004 00BA2510
	v_cmp_u_f32_e64 s[46:47], v49, v49                         // 0000000067B8: D048002E 00026331
	v_add3_u32 v16, v49, v19, 1                                // 0000000067C0: D1FF0010 02062731
	v_cndmask_b32_e64 v5, v16, v18, s[46:47]                   // 0000000067C8: D1000005 00BA2510
	v_perm_b32 v46, v5, v4, s52                                // 0000000067D0: D1ED002E 00D20905
	v_cmp_u_f32_e64 s[46:47], v50, v50                         // 0000000067D8: D048002E 00026532
	v_add3_u32 v16, v50, v19, 1                                // 0000000067E0: D1FF0010 02062732
	v_cndmask_b32_e64 v4, v16, v18, s[46:47]                   // 0000000067E8: D1000004 00BA2510
	v_cmp_u_f32_e64 s[46:47], v51, v51                         // 0000000067F0: D048002E 00026733
	v_add3_u32 v16, v51, v19, 1                                // 0000000067F8: D1FF0010 02062733
	v_cndmask_b32_e64 v5, v16, v18, s[46:47]                   // 000000006800: D1000005 00BA2510
	v_perm_b32 v47, v5, v4, s52                                // 000000006808: D1ED002F 00D20905
	v_cmp_u_f32_e64 s[46:47], v52, v52                         // 000000006810: D048002E 00026934
	v_add3_u32 v16, v52, v19, 1                                // 000000006818: D1FF0010 02062734
	v_cndmask_b32_e64 v4, v16, v18, s[46:47]                   // 000000006820: D1000004 00BA2510
	v_cmp_u_f32_e64 s[46:47], v53, v53                         // 000000006828: D048002E 00026B35
	v_add3_u32 v16, v53, v19, 1                                // 000000006830: D1FF0010 02062735
	v_cndmask_b32_e64 v5, v16, v18, s[46:47]                   // 000000006838: D1000005 00BA2510
	v_perm_b32 v48, v5, v4, s52                                // 000000006840: D1ED0030 00D20905
	v_cmp_u_f32_e64 s[46:47], v54, v54                         // 000000006848: D048002E 00026D36
	v_add3_u32 v16, v54, v19, 1                                // 000000006850: D1FF0010 02062736
	v_cndmask_b32_e64 v4, v16, v18, s[46:47]                   // 000000006858: D1000004 00BA2510
	v_cmp_u_f32_e64 s[46:47], v55, v55                         // 000000006860: D048002E 00026F37
	v_add3_u32 v16, v55, v19, 1                                // 000000006868: D1FF0010 02062737
	v_cndmask_b32_e64 v5, v16, v18, s[46:47]                   // 000000006870: D1000005 00BA2510
	v_perm_b32 v49, v5, v4, s52                                // 000000006878: D1ED0031 00D20905
	v_cmp_u_f32_e64 s[46:47], v56, v56                         // 000000006880: D048002E 00027138
	v_add3_u32 v16, v56, v19, 1                                // 000000006888: D1FF0010 02062738
	v_cndmask_b32_e64 v4, v16, v18, s[46:47]                   // 000000006890: D1000004 00BA2510
	v_cmp_u_f32_e64 s[46:47], v57, v57                         // 000000006898: D048002E 00027339
	v_add3_u32 v16, v57, v19, 1                                // 0000000068A0: D1FF0010 02062739
	v_cndmask_b32_e64 v5, v16, v18, s[46:47]                   // 0000000068A8: D1000005 00BA2510
	v_perm_b32 v50, v5, v4, s52                                // 0000000068B0: D1ED0032 00D20905
	v_cmp_u_f32_e64 s[46:47], v58, v58                         // 0000000068B8: D048002E 0002753A
	v_add3_u32 v16, v58, v19, 1                                // 0000000068C0: D1FF0010 0206273A
	v_cndmask_b32_e64 v4, v16, v18, s[46:47]                   // 0000000068C8: D1000004 00BA2510
	v_cmp_u_f32_e64 s[46:47], v59, v59                         // 0000000068D0: D048002E 0002773B
	v_add3_u32 v16, v59, v19, 1                                // 0000000068D8: D1FF0010 0206273B
	v_cndmask_b32_e64 v5, v16, v18, s[46:47]                   // 0000000068E0: D1000005 00BA2510
	v_perm_b32 v51, v5, v4, s52                                // 0000000068E8: D1ED0033 00D20905
	v_cmp_u_f32_e64 s[46:47], v60, v60                         // 0000000068F0: D048002E 0002793C
	v_add3_u32 v16, v60, v19, 1                                // 0000000068F8: D1FF0010 0206273C
	v_cndmask_b32_e64 v4, v16, v18, s[46:47]                   // 000000006900: D1000004 00BA2510
	v_cmp_u_f32_e64 s[46:47], v61, v61                         // 000000006908: D048002E 00027B3D
	v_add3_u32 v16, v61, v19, 1                                // 000000006910: D1FF0010 0206273D
	v_cndmask_b32_e64 v5, v16, v18, s[46:47]                   // 000000006918: D1000005 00BA2510
	v_perm_b32 v52, v5, v4, s52                                // 000000006920: D1ED0034 00D20905
	v_cmp_u_f32_e64 s[46:47], v62, v62                         // 000000006928: D048002E 00027D3E
	v_add3_u32 v16, v62, v19, 1                                // 000000006930: D1FF0010 0206273E
	v_cndmask_b32_e64 v4, v16, v18, s[46:47]                   // 000000006938: D1000004 00BA2510
	v_cmp_u_f32_e64 s[46:47], v63, v63                         // 000000006940: D048002E 00027F3F
	v_add3_u32 v16, v63, v19, 1                                // 000000006948: D1FF0010 0206273F
	v_cndmask_b32_e64 v5, v16, v18, s[46:47]                   // 000000006950: D1000005 00BA2510
	v_perm_b32 v53, v5, v4, s52                                // 000000006958: D1ED0035 00D20905
	v_cmp_u_f32_e64 s[46:47], v64, v64                         // 000000006960: D048002E 00028140
	v_add3_u32 v16, v64, v19, 1                                // 000000006968: D1FF0010 02062740
	v_cndmask_b32_e64 v4, v16, v18, s[46:47]                   // 000000006970: D1000004 00BA2510
	v_cmp_u_f32_e64 s[46:47], v65, v65                         // 000000006978: D048002E 00028341
	v_add3_u32 v16, v65, v19, 1                                // 000000006980: D1FF0010 02062741
	v_cndmask_b32_e64 v5, v16, v18, s[46:47]                   // 000000006988: D1000005 00BA2510
	v_perm_b32 v54, v5, v4, s52                                // 000000006990: D1ED0036 00D20905
	v_cmp_u_f32_e64 s[46:47], v66, v66                         // 000000006998: D048002E 00028542
	v_add3_u32 v16, v66, v19, 1                                // 0000000069A0: D1FF0010 02062742
	v_cndmask_b32_e64 v4, v16, v18, s[46:47]                   // 0000000069A8: D1000004 00BA2510
	v_cmp_u_f32_e64 s[46:47], v67, v67                         // 0000000069B0: D048002E 00028743
	v_add3_u32 v16, v67, v19, 1                                // 0000000069B8: D1FF0010 02062743
	v_cndmask_b32_e64 v5, v16, v18, s[46:47]                   // 0000000069C0: D1000005 00BA2510
	v_perm_b32 v55, v5, v4, s52                                // 0000000069C8: D1ED0037 00D20905
	v_cmp_u_f32_e64 s[46:47], v68, v68                         // 0000000069D0: D048002E 00028944
	v_add3_u32 v16, v68, v19, 1                                // 0000000069D8: D1FF0010 02062744
	v_cndmask_b32_e64 v4, v16, v18, s[46:47]                   // 0000000069E0: D1000004 00BA2510
	v_cmp_u_f32_e64 s[46:47], v69, v69                         // 0000000069E8: D048002E 00028B45
	v_add3_u32 v16, v69, v19, 1                                // 0000000069F0: D1FF0010 02062745
	v_cndmask_b32_e64 v5, v16, v18, s[46:47]                   // 0000000069F8: D1000005 00BA2510
	v_perm_b32 v56, v5, v4, s52                                // 000000006A00: D1ED0038 00D20905
	v_cmp_u_f32_e64 s[46:47], v70, v70                         // 000000006A08: D048002E 00028D46
	v_add3_u32 v16, v70, v19, 1                                // 000000006A10: D1FF0010 02062746
	v_cndmask_b32_e64 v4, v16, v18, s[46:47]                   // 000000006A18: D1000004 00BA2510
	v_cmp_u_f32_e64 s[46:47], v71, v71                         // 000000006A20: D048002E 00028F47
	v_add3_u32 v16, v71, v19, 1                                // 000000006A28: D1FF0010 02062747
	v_cndmask_b32_e64 v5, v16, v18, s[46:47]                   // 000000006A30: D1000005 00BA2510
	v_perm_b32 v57, v5, v4, s52                                // 000000006A38: D1ED0039 00D20905
	v_cmp_u_f32_e64 s[46:47], v72, v72                         // 000000006A40: D048002E 00029148
	v_add3_u32 v16, v72, v19, 1                                // 000000006A48: D1FF0010 02062748
	v_cndmask_b32_e64 v4, v16, v18, s[46:47]                   // 000000006A50: D1000004 00BA2510
	v_cmp_u_f32_e64 s[46:47], v73, v73                         // 000000006A58: D048002E 00029349
	v_add3_u32 v16, v73, v19, 1                                // 000000006A60: D1FF0010 02062749
	v_cndmask_b32_e64 v5, v16, v18, s[46:47]                   // 000000006A68: D1000005 00BA2510
	v_perm_b32 v58, v5, v4, s52                                // 000000006A70: D1ED003A 00D20905
	v_cmp_u_f32_e64 s[46:47], v74, v74                         // 000000006A78: D048002E 0002954A
	v_add3_u32 v16, v74, v19, 1                                // 000000006A80: D1FF0010 0206274A
	v_cndmask_b32_e64 v4, v16, v18, s[46:47]                   // 000000006A88: D1000004 00BA2510
	v_cmp_u_f32_e64 s[46:47], v75, v75                         // 000000006A90: D048002E 0002974B
	v_add3_u32 v16, v75, v19, 1                                // 000000006A98: D1FF0010 0206274B
	v_cndmask_b32_e64 v5, v16, v18, s[46:47]                   // 000000006AA0: D1000005 00BA2510
	v_perm_b32 v59, v5, v4, s52                                // 000000006AA8: D1ED003B 00D20905
	ds_write_b64 v20, v[44:45]                                 // 000000006AB0: D89A0000 00002C14
	ds_write_b64 v20, v[46:47] offset:2176                     // 000000006AB8: D89A0880 00002E14
	ds_write_b64 v20, v[48:49] offset:4352                     // 000000006AC0: D89A1100 00003014
	ds_write_b64 v20, v[50:51] offset:6528                     // 000000006AC8: D89A1980 00003214
	ds_write_b64 v20, v[52:53] offset:8704                     // 000000006AD0: D89A2200 00003414
	ds_write_b64 v20, v[54:55] offset:10880                    // 000000006AD8: D89A2A80 00003614
	ds_write_b64 v20, v[56:57] offset:13056                    // 000000006AE0: D89A3300 00003814
	ds_write_b64 v20, v[58:59] offset:15232                    // 000000006AE8: D89A3B80 00003A14
	v_lshrrev_b32_e32 v4, 5, v0                                // 000000006AF0: 20080085
	v_xor_b32_e32 v5, 1, v4                                    // 000000006AF4: 2A0A0881
	s_mul_i32 s60, s65, 2                                      // 000000006AF8: 923C8241
	s_cmp_eq_u32 s88, 0                                        // 000000006AFC: BF068058
	s_cselect_b32 s61, 1, 4                                    // 000000006B00: 853D8481
	s_mul_i32 s60, s61, s60                                    // 000000006B04: 923C3C3D
	v_readlane_b32 s82, v3, 0                                  // 000000006B08: D2890052 00010103
	s_lshr_b32 s61, s82, 24                                    // 000000006B10: 8F3D9852
	s_and_b32 s82, s82, 0xffffff                               // 000000006B14: 8652FF52 00FFFFFF
	s_mul_i32 s82, s82, s71                                    // 000000006B1C: 92524752
	s_mul_i32 s61, s60, s61                                    // 000000006B20: 923D3D3C
	s_add_u32 s82, s82, s61                                    // 000000006B24: 80523D52
	v_mul_lo_u32 v6, v5, s82                                   // 000000006B28: D2850006 0000A505
	v_readlane_b32 s82, v3, 1                                  // 000000006B30: D2890052 00010303
	s_lshr_b32 s61, s82, 24                                    // 000000006B38: 8F3D9852
	s_and_b32 s82, s82, 0xffffff                               // 000000006B3C: 8652FF52 00FFFFFF
	s_mul_i32 s82, s82, s71                                    // 000000006B44: 92524752
	s_mul_i32 s61, s60, s61                                    // 000000006B48: 923D3D3C
	s_add_u32 s82, s82, s61                                    // 000000006B4C: 80523D52
	v_mul_lo_u32 v7, v4, s82                                   // 000000006B50: D2850007 0000A504
	v_add_u32_e32 v33, v6, v7                                  // 000000006B58: 68420F06
	v_readlane_b32 s82, v3, 2                                  // 000000006B5C: D2890052 00010503
	s_lshr_b32 s61, s82, 24                                    // 000000006B64: 8F3D9852
	s_and_b32 s82, s82, 0xffffff                               // 000000006B68: 8652FF52 00FFFFFF
	s_mul_i32 s82, s82, s71                                    // 000000006B70: 92524752
	s_mul_i32 s61, s60, s61                                    // 000000006B74: 923D3D3C
	s_add_u32 s82, s82, s61                                    // 000000006B78: 80523D52
	v_mul_lo_u32 v6, v5, s82                                   // 000000006B7C: D2850006 0000A505
	v_readlane_b32 s82, v3, 3                                  // 000000006B84: D2890052 00010703
	s_lshr_b32 s61, s82, 24                                    // 000000006B8C: 8F3D9852
	s_and_b32 s82, s82, 0xffffff                               // 000000006B90: 8652FF52 00FFFFFF
	s_mul_i32 s82, s82, s71                                    // 000000006B98: 92524752
	s_mul_i32 s61, s60, s61                                    // 000000006B9C: 923D3D3C
	s_add_u32 s82, s82, s61                                    // 000000006BA0: 80523D52
	v_mul_lo_u32 v7, v4, s82                                   // 000000006BA4: D2850007 0000A504
	v_add_u32_e32 v34, v6, v7                                  // 000000006BAC: 68440F06
	v_and_b32_e32 v4, 31, v0                                   // 000000006BB0: 2608009F
	v_lshrrev_b32_e32 v4, 1, v4                                // 000000006BB4: 20080881
	s_cmp_eq_u32 s88, 0                                        // 000000006BB8: BF068058
	s_cselect_b32 s61, 2, 4                                    // 000000006BBC: 853D8482
	v_mul_lo_u32 v4, v4, s61                                   // 000000006BC0: D2850004 00007B04
	v_and_b32_e64 v5, v0, 1                                    // 000000006BC8: D1130005 00010300
	v_add_u32_e32 v4, v4, v5                                   // 000000006BD0: 68080B04
	v_lshlrev_b32_e32 v4, 2, v4                                // 000000006BD4: 24080882
	v_add_u32_e32 v33, v33, v4                                 // 000000006BD8: 68420921
	v_add_u32_e32 v34, v34, v4                                 // 000000006BDC: 68440922
	s_waitcnt lgkmcnt(0)                                       // 000000006BE0: BF8CC07F
	s_barrier                                                  // 000000006BE4: BF8A0000
	ds_read_b32 v44, v21                                       // 000000006BE8: D86C0000 2C000015
	ds_read_b32 v45, v21 offset:64                             // 000000006BF0: D86C0040 2D000015
	ds_read_b32 v46, v21 offset:2176                           // 000000006BF8: D86C0880 2E000015
	ds_read_b32 v47, v21 offset:2240                           // 000000006C00: D86C08C0 2F000015
	ds_read_b32 v48, v21 offset:4352                           // 000000006C08: D86C1100 30000015
	ds_read_b32 v49, v21 offset:4416                           // 000000006C10: D86C1140 31000015
	ds_read_b32 v50, v21 offset:6528                           // 000000006C18: D86C1980 32000015
	ds_read_b32 v51, v21 offset:6592                           // 000000006C20: D86C19C0 33000015
	ds_read_b32 v52, v21 offset:8704                           // 000000006C28: D86C2200 34000015
	ds_read_b32 v53, v21 offset:8768                           // 000000006C30: D86C2240 35000015
	ds_read_b32 v54, v21 offset:10880                          // 000000006C38: D86C2A80 36000015
	ds_read_b32 v55, v21 offset:10944                          // 000000006C40: D86C2AC0 37000015
	ds_read_b32 v56, v21 offset:13056                          // 000000006C48: D86C3300 38000015
	ds_read_b32 v57, v21 offset:13120                          // 000000006C50: D86C3340 39000015
	ds_read_b32 v58, v21 offset:15232                          // 000000006C58: D86C3B80 3A000015
	ds_read_b32 v59, v21 offset:15296                          // 000000006C60: D86C3BC0 3B000015
	s_waitcnt lgkmcnt(0)                                       // 000000006C68: BF8CC07F
	s_mov_b32 s36, -1                                          // 000000006C6C: BEA400C1
	s_mov_b32 s37, -1                                          // 000000006C70: BEA500C1
	v_mov_b32_e32 v7, 0                                        // 000000006C74: 7E0E0280
	s_or_b32 s9, s9, 0x40000                                   // 000000006C78: 8709FF09 00040000
	s_mov_b64 exec, s[36:37]                                   // 000000006C80: BEFE0124
	v_mov_b32_e32 v6, v33                                      // 000000006C84: 7E0C0321
	s_mov_b64 s[60:61], 0                                      // 000000006C88: BEBC0180
	v_readlane_b32 s82, v3, 0                                  // 000000006C8C: D2890052 00010103
	s_and_b32 s82, s82, 0xffffff                               // 000000006C94: 8652FF52 00FFFFFF
	s_cmp_lt_u32 s82, s66                                      // 000000006C9C: BF0A4252
	s_cselect_b32 s20, s36, s60                                // 000000006CA0: 85143C24
	v_readlane_b32 s82, v3, 1                                  // 000000006CA4: D2890052 00010303
	s_and_b32 s82, s82, 0xffffff                               // 000000006CAC: 8652FF52 00FFFFFF
	s_cmp_lt_u32 s82, s66                                      // 000000006CB4: BF0A4252
	s_cselect_b32 s21, s36, s60                                // 000000006CB8: 85153C24
	s_mov_b64 exec, s[20:21]                                   // 000000006CBC: BEFE0114
	buffer_store_dword v44, v6, s[8:11], 0 offen               // 000000006CC0: E0701000 80022C06
	buffer_store_dword v46, v6, s[8:11], 0 offen offset:128    // 000000006CC8: E0701080 80022E06
	buffer_store_dword v48, v6, s[8:11], 0 offen offset:256    // 000000006CD0: E0701100 80023006
	buffer_store_dword v50, v6, s[8:11], 0 offen offset:384    // 000000006CD8: E0701180 80023206
	buffer_store_dword v52, v6, s[8:11], 0 offen offset:512    // 000000006CE0: E0701200 80023406
	buffer_store_dword v54, v6, s[8:11], 0 offen offset:640    // 000000006CE8: E0701280 80023606
	buffer_store_dword v56, v6, s[8:11], 0 offen offset:768    // 000000006CF0: E0701300 80023806
	buffer_store_dword v58, v6, s[8:11], 0 offen offset:896    // 000000006CF8: E0701380 80023A06
	s_mov_b64 exec, s[36:37]                                   // 000000006D00: BEFE0124
	v_mov_b32_e32 v6, v34                                      // 000000006D04: 7E0C0322
	s_mov_b64 s[60:61], 0                                      // 000000006D08: BEBC0180
	v_readlane_b32 s82, v3, 2                                  // 000000006D0C: D2890052 00010503
	s_and_b32 s82, s82, 0xffffff                               // 000000006D14: 8652FF52 00FFFFFF
	s_cmp_lt_u32 s82, s66                                      // 000000006D1C: BF0A4252
	s_cselect_b32 s20, s36, s60                                // 000000006D20: 85143C24
	v_readlane_b32 s82, v3, 3                                  // 000000006D24: D2890052 00010703
	s_and_b32 s82, s82, 0xffffff                               // 000000006D2C: 8652FF52 00FFFFFF
	s_cmp_lt_u32 s82, s66                                      // 000000006D34: BF0A4252
	s_cselect_b32 s21, s36, s60                                // 000000006D38: 85153C24
	s_mov_b64 exec, s[20:21]                                   // 000000006D3C: BEFE0114
	buffer_store_dword v45, v6, s[8:11], 0 offen               // 000000006D40: E0701000 80022D06
	buffer_store_dword v47, v6, s[8:11], 0 offen offset:128    // 000000006D48: E0701080 80022F06
	buffer_store_dword v49, v6, s[8:11], 0 offen offset:256    // 000000006D50: E0701100 80023106
	buffer_store_dword v51, v6, s[8:11], 0 offen offset:384    // 000000006D58: E0701180 80023306
	buffer_store_dword v53, v6, s[8:11], 0 offen offset:512    // 000000006D60: E0701200 80023506
	buffer_store_dword v55, v6, s[8:11], 0 offen offset:640    // 000000006D68: E0701280 80023706
	buffer_store_dword v57, v6, s[8:11], 0 offen offset:768    // 000000006D70: E0701300 80023906
	buffer_store_dword v59, v6, s[8:11], 0 offen offset:896    // 000000006D78: E0701380 80023B06
	s_mov_b64 exec, s[36:37]                                   // 000000006D80: BEFE0124
	s_branch label_12FB                                        // 000000006D84: BF820216

0000000000006d88 <label_10E5>:
	ds_write_b64 v20, v[44:45]                                 // 000000006D88: D89A0000 00002C14
	ds_write_b64 v20, v[48:49] offset:2176                     // 000000006D90: D89A0880 00003014
	ds_write_b64 v20, v[52:53] offset:4352                     // 000000006D98: D89A1100 00003414
	ds_write_b64 v20, v[56:57] offset:6528                     // 000000006DA0: D89A1980 00003814
	ds_write_b64 v20, v[60:61] offset:8704                     // 000000006DA8: D89A2200 00003C14
	ds_write_b64 v20, v[64:65] offset:10880                    // 000000006DB0: D89A2A80 00004014
	ds_write_b64 v20, v[68:69] offset:13056                    // 000000006DB8: D89A3300 00004414
	ds_write_b64 v20, v[72:73] offset:15232                    // 000000006DC0: D89A3B80 00004814
	v_lshrrev_b32_e32 v4, 5, v0                                // 000000006DC8: 20080085
	v_xor_b32_e32 v5, 1, v4                                    // 000000006DCC: 2A0A0881
	s_mul_i32 s60, s65, 2                                      // 000000006DD0: 923C8241
	s_cmp_eq_u32 s88, 0                                        // 000000006DD4: BF068058
	s_cselect_b32 s61, 1, 4                                    // 000000006DD8: 853D8481
	s_mul_i32 s60, s61, s60                                    // 000000006DDC: 923C3C3D
	v_readlane_b32 s82, v3, 0                                  // 000000006DE0: D2890052 00010103
	s_lshr_b32 s61, s82, 24                                    // 000000006DE8: 8F3D9852
	s_and_b32 s82, s82, 0xffffff                               // 000000006DEC: 8652FF52 00FFFFFF
	s_mul_i32 s82, s82, s71                                    // 000000006DF4: 92524752
	s_mul_i32 s61, s60, s61                                    // 000000006DF8: 923D3D3C
	s_add_u32 s82, s82, s61                                    // 000000006DFC: 80523D52
	v_mul_lo_u32 v6, v5, s82                                   // 000000006E00: D2850006 0000A505
	v_readlane_b32 s82, v3, 1                                  // 000000006E08: D2890052 00010303
	s_lshr_b32 s61, s82, 24                                    // 000000006E10: 8F3D9852
	s_and_b32 s82, s82, 0xffffff                               // 000000006E14: 8652FF52 00FFFFFF
	s_mul_i32 s82, s82, s71                                    // 000000006E1C: 92524752
	s_mul_i32 s61, s60, s61                                    // 000000006E20: 923D3D3C
	s_add_u32 s82, s82, s61                                    // 000000006E24: 80523D52
	v_mul_lo_u32 v7, v4, s82                                   // 000000006E28: D2850007 0000A504
	v_add_u32_e32 v33, v6, v7                                  // 000000006E30: 68420F06
	v_readlane_b32 s82, v3, 2                                  // 000000006E34: D2890052 00010503
	s_lshr_b32 s61, s82, 24                                    // 000000006E3C: 8F3D9852
	s_and_b32 s82, s82, 0xffffff                               // 000000006E40: 8652FF52 00FFFFFF
	s_mul_i32 s82, s82, s71                                    // 000000006E48: 92524752
	s_mul_i32 s61, s60, s61                                    // 000000006E4C: 923D3D3C
	s_add_u32 s82, s82, s61                                    // 000000006E50: 80523D52
	v_mul_lo_u32 v6, v5, s82                                   // 000000006E54: D2850006 0000A505
	v_readlane_b32 s82, v3, 3                                  // 000000006E5C: D2890052 00010703
	s_lshr_b32 s61, s82, 24                                    // 000000006E64: 8F3D9852
	s_and_b32 s82, s82, 0xffffff                               // 000000006E68: 8652FF52 00FFFFFF
	s_mul_i32 s82, s82, s71                                    // 000000006E70: 92524752
	s_mul_i32 s61, s60, s61                                    // 000000006E74: 923D3D3C
	s_add_u32 s82, s82, s61                                    // 000000006E78: 80523D52
	v_mul_lo_u32 v7, v4, s82                                   // 000000006E7C: D2850007 0000A504
	v_add_u32_e32 v34, v6, v7                                  // 000000006E84: 68440F06
	v_and_b32_e32 v4, 31, v0                                   // 000000006E88: 2608009F
	v_lshrrev_b32_e32 v4, 1, v4                                // 000000006E8C: 20080881
	s_cmp_eq_u32 s88, 0                                        // 000000006E90: BF068058
	s_cselect_b32 s61, 2, 4                                    // 000000006E94: 853D8482
	v_mul_lo_u32 v4, v4, s61                                   // 000000006E98: D2850004 00007B04
	v_and_b32_e64 v5, v0, 1                                    // 000000006EA0: D1130005 00010300
	v_add_u32_e32 v4, v4, v5                                   // 000000006EA8: 68080B04
	v_lshlrev_b32_e32 v4, 2, v4                                // 000000006EAC: 24080882
	v_add_u32_e32 v33, v33, v4                                 // 000000006EB0: 68420921
	v_add_u32_e32 v34, v34, v4                                 // 000000006EB4: 68440922
	s_waitcnt lgkmcnt(0)                                       // 000000006EB8: BF8CC07F
	s_barrier                                                  // 000000006EBC: BF8A0000
	ds_read_b32 v44, v21                                       // 000000006EC0: D86C0000 2C000015
	ds_read_b32 v45, v21 offset:64                             // 000000006EC8: D86C0040 2D000015
	ds_read_b32 v48, v21 offset:2176                           // 000000006ED0: D86C0880 30000015
	ds_read_b32 v49, v21 offset:2240                           // 000000006ED8: D86C08C0 31000015
	ds_read_b32 v52, v21 offset:4352                           // 000000006EE0: D86C1100 34000015
	ds_read_b32 v53, v21 offset:4416                           // 000000006EE8: D86C1140 35000015
	ds_read_b32 v56, v21 offset:6528                           // 000000006EF0: D86C1980 38000015
	ds_read_b32 v57, v21 offset:6592                           // 000000006EF8: D86C19C0 39000015
	ds_read_b32 v60, v21 offset:8704                           // 000000006F00: D86C2200 3C000015
	ds_read_b32 v61, v21 offset:8768                           // 000000006F08: D86C2240 3D000015
	ds_read_b32 v64, v21 offset:10880                          // 000000006F10: D86C2A80 40000015
	ds_read_b32 v65, v21 offset:10944                          // 000000006F18: D86C2AC0 41000015
	ds_read_b32 v68, v21 offset:13056                          // 000000006F20: D86C3300 44000015
	ds_read_b32 v69, v21 offset:13120                          // 000000006F28: D86C3340 45000015
	ds_read_b32 v72, v21 offset:15232                          // 000000006F30: D86C3B80 48000015
	ds_read_b32 v73, v21 offset:15296                          // 000000006F38: D86C3BC0 49000015
	s_waitcnt lgkmcnt(0)                                       // 000000006F40: BF8CC07F
	s_mov_b32 s36, -1                                          // 000000006F44: BEA400C1
	s_mov_b32 s37, -1                                          // 000000006F48: BEA500C1
	v_mov_b32_e32 v7, 0                                        // 000000006F4C: 7E0E0280
	s_mov_b64 exec, s[36:37]                                   // 000000006F50: BEFE0124
	v_mov_b32_e32 v6, v33                                      // 000000006F54: 7E0C0321
	s_mov_b64 s[60:61], 0                                      // 000000006F58: BEBC0180
	v_readlane_b32 s82, v3, 0                                  // 000000006F5C: D2890052 00010103
	s_and_b32 s82, s82, 0xffffff                               // 000000006F64: 8652FF52 00FFFFFF
	s_cmp_lt_u32 s82, s66                                      // 000000006F6C: BF0A4252
	s_cselect_b32 s20, s36, s60                                // 000000006F70: 85143C24
	v_readlane_b32 s82, v3, 1                                  // 000000006F74: D2890052 00010303
	s_and_b32 s82, s82, 0xffffff                               // 000000006F7C: 8652FF52 00FFFFFF
	s_cmp_lt_u32 s82, s66                                      // 000000006F84: BF0A4252
	s_cselect_b32 s21, s36, s60                                // 000000006F88: 85153C24
	s_mov_b64 exec, s[20:21]                                   // 000000006F8C: BEFE0114
	global_atomic_add_f32 v6, v44, s[8:9]                      // 000000006F90: DD348000 00082C06
	global_atomic_add_f32 v6, v48, s[8:9] offset:256           // 000000006F98: DD348100 00083006
	global_atomic_add_f32 v6, v52, s[8:9] offset:512           // 000000006FA0: DD348200 00083406
	global_atomic_add_f32 v6, v56, s[8:9] offset:768           // 000000006FA8: DD348300 00083806
	global_atomic_add_f32 v6, v60, s[8:9] offset:1024          // 000000006FB0: DD348400 00083C06
	global_atomic_add_f32 v6, v64, s[8:9] offset:1280          // 000000006FB8: DD348500 00084006
	global_atomic_add_f32 v6, v68, s[8:9] offset:1536          // 000000006FC0: DD348600 00084406
	global_atomic_add_f32 v6, v72, s[8:9] offset:1792          // 000000006FC8: DD348700 00084806
	s_mov_b64 exec, s[36:37]                                   // 000000006FD0: BEFE0124
	v_mov_b32_e32 v6, v34                                      // 000000006FD4: 7E0C0322
	s_mov_b64 s[60:61], 0                                      // 000000006FD8: BEBC0180
	v_readlane_b32 s82, v3, 2                                  // 000000006FDC: D2890052 00010503
	s_and_b32 s82, s82, 0xffffff                               // 000000006FE4: 8652FF52 00FFFFFF
	s_cmp_lt_u32 s82, s66                                      // 000000006FEC: BF0A4252
	s_cselect_b32 s20, s36, s60                                // 000000006FF0: 85143C24
	v_readlane_b32 s82, v3, 3                                  // 000000006FF4: D2890052 00010703
	s_and_b32 s82, s82, 0xffffff                               // 000000006FFC: 8652FF52 00FFFFFF
	s_cmp_lt_u32 s82, s66                                      // 000000007004: BF0A4252
	s_cselect_b32 s21, s36, s60                                // 000000007008: 85153C24
	s_mov_b64 exec, s[20:21]                                   // 00000000700C: BEFE0114
	global_atomic_add_f32 v6, v45, s[8:9]                      // 000000007010: DD348000 00082D06
	global_atomic_add_f32 v6, v49, s[8:9] offset:256           // 000000007018: DD348100 00083106
	global_atomic_add_f32 v6, v53, s[8:9] offset:512           // 000000007020: DD348200 00083506
	global_atomic_add_f32 v6, v57, s[8:9] offset:768           // 000000007028: DD348300 00083906
	global_atomic_add_f32 v6, v61, s[8:9] offset:1024          // 000000007030: DD348400 00083D06
	global_atomic_add_f32 v6, v65, s[8:9] offset:1280          // 000000007038: DD348500 00084106
	global_atomic_add_f32 v6, v69, s[8:9] offset:1536          // 000000007040: DD348600 00084506
	global_atomic_add_f32 v6, v73, s[8:9] offset:1792          // 000000007048: DD348700 00084906
	s_mov_b64 exec, s[36:37]                                   // 000000007050: BEFE0124
	ds_write_b64 v20, v[46:47]                                 // 000000007054: D89A0000 00002E14
	ds_write_b64 v20, v[50:51] offset:2176                     // 00000000705C: D89A0880 00003214
	ds_write_b64 v20, v[54:55] offset:4352                     // 000000007064: D89A1100 00003614
	ds_write_b64 v20, v[58:59] offset:6528                     // 00000000706C: D89A1980 00003A14
	ds_write_b64 v20, v[62:63] offset:8704                     // 000000007074: D89A2200 00003E14
	ds_write_b64 v20, v[66:67] offset:10880                    // 00000000707C: D89A2A80 00004214
	ds_write_b64 v20, v[70:71] offset:13056                    // 000000007084: D89A3300 00004614
	ds_write_b64 v20, v[74:75] offset:15232                    // 00000000708C: D89A3B80 00004A14
	s_waitcnt lgkmcnt(0)                                       // 000000007094: BF8CC07F
	s_barrier                                                  // 000000007098: BF8A0000
	ds_read_b32 v46, v21                                       // 00000000709C: D86C0000 2E000015
	ds_read_b32 v47, v21 offset:64                             // 0000000070A4: D86C0040 2F000015
	ds_read_b32 v50, v21 offset:2176                           // 0000000070AC: D86C0880 32000015
	ds_read_b32 v51, v21 offset:2240                           // 0000000070B4: D86C08C0 33000015
	ds_read_b32 v54, v21 offset:4352                           // 0000000070BC: D86C1100 36000015
	ds_read_b32 v55, v21 offset:4416                           // 0000000070C4: D86C1140 37000015
	ds_read_b32 v58, v21 offset:6528                           // 0000000070CC: D86C1980 3A000015
	ds_read_b32 v59, v21 offset:6592                           // 0000000070D4: D86C19C0 3B000015
	ds_read_b32 v62, v21 offset:8704                           // 0000000070DC: D86C2200 3E000015
	ds_read_b32 v63, v21 offset:8768                           // 0000000070E4: D86C2240 3F000015
	ds_read_b32 v66, v21 offset:10880                          // 0000000070EC: D86C2A80 42000015
	ds_read_b32 v67, v21 offset:10944                          // 0000000070F4: D86C2AC0 43000015
	ds_read_b32 v70, v21 offset:13056                          // 0000000070FC: D86C3300 46000015
	ds_read_b32 v71, v21 offset:13120                          // 000000007104: D86C3340 47000015
	ds_read_b32 v74, v21 offset:15232                          // 00000000710C: D86C3B80 4A000015
	ds_read_b32 v75, v21 offset:15296                          // 000000007114: D86C3BC0 4B000015
	s_waitcnt lgkmcnt(0)                                       // 00000000711C: BF8CC07F
	v_mov_b32_e32 v7, 0                                        // 000000007120: 7E0E0280
	s_mov_b64 exec, s[36:37]                                   // 000000007124: BEFE0124
	v_mov_b32_e32 v6, v33                                      // 000000007128: 7E0C0321
	s_mov_b64 s[60:61], 0                                      // 00000000712C: BEBC0180
	v_readlane_b32 s82, v3, 0                                  // 000000007130: D2890052 00010103
	s_and_b32 s82, s82, 0xffffff                               // 000000007138: 8652FF52 00FFFFFF
	s_cmp_lt_u32 s82, s66                                      // 000000007140: BF0A4252
	s_cselect_b32 s20, s36, s60                                // 000000007144: 85143C24
	v_readlane_b32 s82, v3, 1                                  // 000000007148: D2890052 00010303
	s_and_b32 s82, s82, 0xffffff                               // 000000007150: 8652FF52 00FFFFFF
	s_cmp_lt_u32 s82, s66                                      // 000000007158: BF0A4252
	s_cselect_b32 s21, s36, s60                                // 00000000715C: 85153C24
	s_mov_b64 exec, s[20:21]                                   // 000000007160: BEFE0114
	global_atomic_add_f32 v6, v46, s[8:9] offset:8             // 000000007164: DD348008 00082E06
	global_atomic_add_f32 v6, v50, s[8:9] offset:264           // 00000000716C: DD348108 00083206
	global_atomic_add_f32 v6, v54, s[8:9] offset:520           // 000000007174: DD348208 00083606
	global_atomic_add_f32 v6, v58, s[8:9] offset:776           // 00000000717C: DD348308 00083A06
	global_atomic_add_f32 v6, v62, s[8:9] offset:1032          // 000000007184: DD348408 00083E06
	global_atomic_add_f32 v6, v66, s[8:9] offset:1288          // 00000000718C: DD348508 00084206
	global_atomic_add_f32 v6, v70, s[8:9] offset:1544          // 000000007194: DD348608 00084606
	global_atomic_add_f32 v6, v74, s[8:9] offset:1800          // 00000000719C: DD348708 00084A06
	s_mov_b64 exec, s[36:37]                                   // 0000000071A4: BEFE0124
	v_mov_b32_e32 v6, v34                                      // 0000000071A8: 7E0C0322
	s_mov_b64 s[60:61], 0                                      // 0000000071AC: BEBC0180
	v_readlane_b32 s82, v3, 2                                  // 0000000071B0: D2890052 00010503
	s_and_b32 s82, s82, 0xffffff                               // 0000000071B8: 8652FF52 00FFFFFF
	s_cmp_lt_u32 s82, s66                                      // 0000000071C0: BF0A4252
	s_cselect_b32 s20, s36, s60                                // 0000000071C4: 85143C24
	v_readlane_b32 s82, v3, 3                                  // 0000000071C8: D2890052 00010703
	s_and_b32 s82, s82, 0xffffff                               // 0000000071D0: 8652FF52 00FFFFFF
	s_cmp_lt_u32 s82, s66                                      // 0000000071D8: BF0A4252
	s_cselect_b32 s21, s36, s60                                // 0000000071DC: 85153C24
	s_mov_b64 exec, s[20:21]                                   // 0000000071E0: BEFE0114
	global_atomic_add_f32 v6, v47, s[8:9] offset:8             // 0000000071E4: DD348008 00082F06
	global_atomic_add_f32 v6, v51, s[8:9] offset:264           // 0000000071EC: DD348108 00083306
	global_atomic_add_f32 v6, v55, s[8:9] offset:520           // 0000000071F4: DD348208 00083706
	global_atomic_add_f32 v6, v59, s[8:9] offset:776           // 0000000071FC: DD348308 00083B06
	global_atomic_add_f32 v6, v63, s[8:9] offset:1032          // 000000007204: DD348408 00083F06
	global_atomic_add_f32 v6, v67, s[8:9] offset:1288          // 00000000720C: DD348508 00084306
	global_atomic_add_f32 v6, v71, s[8:9] offset:1544          // 000000007214: DD348608 00084706
	global_atomic_add_f32 v6, v75, s[8:9] offset:1800          // 00000000721C: DD348708 00084B06
	s_mov_b64 exec, s[36:37]                                   // 000000007224: BEFE0124
	ds_write_b64 v20, v[76:77]                                 // 000000007228: D89A0000 00004C14
	ds_write_b64 v20, v[80:81] offset:2176                     // 000000007230: D89A0880 00005014
	ds_write_b64 v20, v[84:85] offset:4352                     // 000000007238: D89A1100 00005414
	ds_write_b64 v20, v[88:89] offset:6528                     // 000000007240: D89A1980 00005814
	ds_write_b64 v20, v[92:93] offset:8704                     // 000000007248: D89A2200 00005C14
	ds_write_b64 v20, v[96:97] offset:10880                    // 000000007250: D89A2A80 00006014
	ds_write_b64 v20, v[100:101] offset:13056                  // 000000007258: D89A3300 00006414
	ds_write_b64 v20, v[104:105] offset:15232                  // 000000007260: D89A3B80 00006814
	s_waitcnt lgkmcnt(0)                                       // 000000007268: BF8CC07F
	s_barrier                                                  // 00000000726C: BF8A0000
	ds_read_b32 v76, v21                                       // 000000007270: D86C0000 4C000015
	ds_read_b32 v77, v21 offset:64                             // 000000007278: D86C0040 4D000015
	ds_read_b32 v80, v21 offset:2176                           // 000000007280: D86C0880 50000015
	ds_read_b32 v81, v21 offset:2240                           // 000000007288: D86C08C0 51000015
	ds_read_b32 v84, v21 offset:4352                           // 000000007290: D86C1100 54000015
	ds_read_b32 v85, v21 offset:4416                           // 000000007298: D86C1140 55000015
	ds_read_b32 v88, v21 offset:6528                           // 0000000072A0: D86C1980 58000015
	ds_read_b32 v89, v21 offset:6592                           // 0000000072A8: D86C19C0 59000015
	ds_read_b32 v92, v21 offset:8704                           // 0000000072B0: D86C2200 5C000015
	ds_read_b32 v93, v21 offset:8768                           // 0000000072B8: D86C2240 5D000015
	ds_read_b32 v96, v21 offset:10880                          // 0000000072C0: D86C2A80 60000015
	ds_read_b32 v97, v21 offset:10944                          // 0000000072C8: D86C2AC0 61000015
	ds_read_b32 v100, v21 offset:13056                         // 0000000072D0: D86C3300 64000015
	ds_read_b32 v101, v21 offset:13120                         // 0000000072D8: D86C3340 65000015
	ds_read_b32 v104, v21 offset:15232                         // 0000000072E0: D86C3B80 68000015
	ds_read_b32 v105, v21 offset:15296                         // 0000000072E8: D86C3BC0 69000015
	s_mul_i32 s60, s65, 4                                      // 0000000072F0: 923C8441
	s_add_u32 s8, s60, s8                                      // 0000000072F4: 8008083C
	s_addc_u32 s9, 0, s9                                       // 0000000072F8: 82090980
	s_waitcnt lgkmcnt(0)                                       // 0000000072FC: BF8CC07F
	v_mov_b32_e32 v7, 0                                        // 000000007300: 7E0E0280
	s_mov_b64 exec, s[36:37]                                   // 000000007304: BEFE0124
	v_mov_b32_e32 v6, v33                                      // 000000007308: 7E0C0321
	s_mov_b64 s[60:61], 0                                      // 00000000730C: BEBC0180
	v_readlane_b32 s82, v3, 0                                  // 000000007310: D2890052 00010103
	s_and_b32 s82, s82, 0xffffff                               // 000000007318: 8652FF52 00FFFFFF
	s_cmp_lt_u32 s82, s66                                      // 000000007320: BF0A4252
	s_cselect_b32 s20, s36, s60                                // 000000007324: 85143C24
	v_readlane_b32 s82, v3, 1                                  // 000000007328: D2890052 00010303
	s_and_b32 s82, s82, 0xffffff                               // 000000007330: 8652FF52 00FFFFFF
	s_cmp_lt_u32 s82, s66                                      // 000000007338: BF0A4252
	s_cselect_b32 s21, s36, s60                                // 00000000733C: 85153C24
	s_mov_b64 exec, s[20:21]                                   // 000000007340: BEFE0114
	global_atomic_add_f32 v6, v76, s[8:9]                      // 000000007344: DD348000 00084C06
	global_atomic_add_f32 v6, v80, s[8:9] offset:256           // 00000000734C: DD348100 00085006
	global_atomic_add_f32 v6, v84, s[8:9] offset:512           // 000000007354: DD348200 00085406
	global_atomic_add_f32 v6, v88, s[8:9] offset:768           // 00000000735C: DD348300 00085806
	global_atomic_add_f32 v6, v92, s[8:9] offset:1024          // 000000007364: DD348400 00085C06
	global_atomic_add_f32 v6, v96, s[8:9] offset:1280          // 00000000736C: DD348500 00086006
	global_atomic_add_f32 v6, v100, s[8:9] offset:1536         // 000000007374: DD348600 00086406
	global_atomic_add_f32 v6, v104, s[8:9] offset:1792         // 00000000737C: DD348700 00086806
	s_mov_b64 exec, s[36:37]                                   // 000000007384: BEFE0124
	v_mov_b32_e32 v6, v34                                      // 000000007388: 7E0C0322
	s_mov_b64 s[60:61], 0                                      // 00000000738C: BEBC0180
	v_readlane_b32 s82, v3, 2                                  // 000000007390: D2890052 00010503
	s_and_b32 s82, s82, 0xffffff                               // 000000007398: 8652FF52 00FFFFFF
	s_cmp_lt_u32 s82, s66                                      // 0000000073A0: BF0A4252
	s_cselect_b32 s20, s36, s60                                // 0000000073A4: 85143C24
	v_readlane_b32 s82, v3, 3                                  // 0000000073A8: D2890052 00010703
	s_and_b32 s82, s82, 0xffffff                               // 0000000073B0: 8652FF52 00FFFFFF
	s_cmp_lt_u32 s82, s66                                      // 0000000073B8: BF0A4252
	s_cselect_b32 s21, s36, s60                                // 0000000073BC: 85153C24
	s_mov_b64 exec, s[20:21]                                   // 0000000073C0: BEFE0114
	global_atomic_add_f32 v6, v77, s[8:9]                      // 0000000073C4: DD348000 00084D06
	global_atomic_add_f32 v6, v81, s[8:9] offset:256           // 0000000073CC: DD348100 00085106
	global_atomic_add_f32 v6, v85, s[8:9] offset:512           // 0000000073D4: DD348200 00085506
	global_atomic_add_f32 v6, v89, s[8:9] offset:768           // 0000000073DC: DD348300 00085906
	global_atomic_add_f32 v6, v93, s[8:9] offset:1024          // 0000000073E4: DD348400 00085D06
	global_atomic_add_f32 v6, v97, s[8:9] offset:1280          // 0000000073EC: DD348500 00086106
	global_atomic_add_f32 v6, v101, s[8:9] offset:1536         // 0000000073F4: DD348600 00086506
	global_atomic_add_f32 v6, v105, s[8:9] offset:1792         // 0000000073FC: DD348700 00086906
	s_mov_b64 exec, s[36:37]                                   // 000000007404: BEFE0124
	ds_write_b64 v20, v[78:79]                                 // 000000007408: D89A0000 00004E14
	ds_write_b64 v20, v[82:83] offset:2176                     // 000000007410: D89A0880 00005214
	ds_write_b64 v20, v[86:87] offset:4352                     // 000000007418: D89A1100 00005614
	ds_write_b64 v20, v[90:91] offset:6528                     // 000000007420: D89A1980 00005A14
	ds_write_b64 v20, v[94:95] offset:8704                     // 000000007428: D89A2200 00005E14
	ds_write_b64 v20, v[98:99] offset:10880                    // 000000007430: D89A2A80 00006214
	ds_write_b64 v20, v[102:103] offset:13056                  // 000000007438: D89A3300 00006614
	ds_write_b64 v20, v[106:107] offset:15232                  // 000000007440: D89A3B80 00006A14
	s_waitcnt lgkmcnt(0)                                       // 000000007448: BF8CC07F
	s_barrier                                                  // 00000000744C: BF8A0000
	ds_read_b32 v78, v21                                       // 000000007450: D86C0000 4E000015
	ds_read_b32 v79, v21 offset:64                             // 000000007458: D86C0040 4F000015
	ds_read_b32 v82, v21 offset:2176                           // 000000007460: D86C0880 52000015
	ds_read_b32 v83, v21 offset:2240                           // 000000007468: D86C08C0 53000015
	ds_read_b32 v86, v21 offset:4352                           // 000000007470: D86C1100 56000015
	ds_read_b32 v87, v21 offset:4416                           // 000000007478: D86C1140 57000015
	ds_read_b32 v90, v21 offset:6528                           // 000000007480: D86C1980 5A000015
	ds_read_b32 v91, v21 offset:6592                           // 000000007488: D86C19C0 5B000015
	ds_read_b32 v94, v21 offset:8704                           // 000000007490: D86C2200 5E000015
	ds_read_b32 v95, v21 offset:8768                           // 000000007498: D86C2240 5F000015
	ds_read_b32 v98, v21 offset:10880                          // 0000000074A0: D86C2A80 62000015
	ds_read_b32 v99, v21 offset:10944                          // 0000000074A8: D86C2AC0 63000015
	ds_read_b32 v102, v21 offset:13056                         // 0000000074B0: D86C3300 66000015
	ds_read_b32 v103, v21 offset:13120                         // 0000000074B8: D86C3340 67000015
	ds_read_b32 v106, v21 offset:15232                         // 0000000074C0: D86C3B80 6A000015
	ds_read_b32 v107, v21 offset:15296                         // 0000000074C8: D86C3BC0 6B000015
	s_waitcnt lgkmcnt(0)                                       // 0000000074D0: BF8CC07F
	v_mov_b32_e32 v7, 0                                        // 0000000074D4: 7E0E0280
	s_mov_b64 exec, s[36:37]                                   // 0000000074D8: BEFE0124
	v_mov_b32_e32 v6, v33                                      // 0000000074DC: 7E0C0321
	s_mov_b64 s[60:61], 0                                      // 0000000074E0: BEBC0180
	v_readlane_b32 s82, v3, 0                                  // 0000000074E4: D2890052 00010103
	s_and_b32 s82, s82, 0xffffff                               // 0000000074EC: 8652FF52 00FFFFFF
	s_cmp_lt_u32 s82, s66                                      // 0000000074F4: BF0A4252
	s_cselect_b32 s20, s36, s60                                // 0000000074F8: 85143C24
	v_readlane_b32 s82, v3, 1                                  // 0000000074FC: D2890052 00010303
	s_and_b32 s82, s82, 0xffffff                               // 000000007504: 8652FF52 00FFFFFF
	s_cmp_lt_u32 s82, s66                                      // 00000000750C: BF0A4252
	s_cselect_b32 s21, s36, s60                                // 000000007510: 85153C24
	s_mov_b64 exec, s[20:21]                                   // 000000007514: BEFE0114
	global_atomic_add_f32 v6, v78, s[8:9] offset:8             // 000000007518: DD348008 00084E06
	global_atomic_add_f32 v6, v82, s[8:9] offset:264           // 000000007520: DD348108 00085206
	global_atomic_add_f32 v6, v86, s[8:9] offset:520           // 000000007528: DD348208 00085606
	global_atomic_add_f32 v6, v90, s[8:9] offset:776           // 000000007530: DD348308 00085A06
	global_atomic_add_f32 v6, v94, s[8:9] offset:1032          // 000000007538: DD348408 00085E06
	global_atomic_add_f32 v6, v98, s[8:9] offset:1288          // 000000007540: DD348508 00086206
	global_atomic_add_f32 v6, v102, s[8:9] offset:1544         // 000000007548: DD348608 00086606
	global_atomic_add_f32 v6, v106, s[8:9] offset:1800         // 000000007550: DD348708 00086A06
	s_mov_b64 exec, s[36:37]                                   // 000000007558: BEFE0124
	v_mov_b32_e32 v6, v34                                      // 00000000755C: 7E0C0322
	s_mov_b64 s[60:61], 0                                      // 000000007560: BEBC0180
	v_readlane_b32 s82, v3, 2                                  // 000000007564: D2890052 00010503
	s_and_b32 s82, s82, 0xffffff                               // 00000000756C: 8652FF52 00FFFFFF
	s_cmp_lt_u32 s82, s66                                      // 000000007574: BF0A4252
	s_cselect_b32 s20, s36, s60                                // 000000007578: 85143C24
	v_readlane_b32 s82, v3, 3                                  // 00000000757C: D2890052 00010703
	s_and_b32 s82, s82, 0xffffff                               // 000000007584: 8652FF52 00FFFFFF
	s_cmp_lt_u32 s82, s66                                      // 00000000758C: BF0A4252
	s_cselect_b32 s21, s36, s60                                // 000000007590: 85153C24
	s_mov_b64 exec, s[20:21]                                   // 000000007594: BEFE0114
	global_atomic_add_f32 v6, v79, s[8:9] offset:8             // 000000007598: DD348008 00084F06
	global_atomic_add_f32 v6, v83, s[8:9] offset:264           // 0000000075A0: DD348108 00085306
	global_atomic_add_f32 v6, v87, s[8:9] offset:520           // 0000000075A8: DD348208 00085706
	global_atomic_add_f32 v6, v91, s[8:9] offset:776           // 0000000075B0: DD348308 00085B06
	global_atomic_add_f32 v6, v95, s[8:9] offset:1032          // 0000000075B8: DD348408 00085F06
	global_atomic_add_f32 v6, v99, s[8:9] offset:1288          // 0000000075C0: DD348508 00086306
	global_atomic_add_f32 v6, v103, s[8:9] offset:1544         // 0000000075C8: DD348608 00086706
	global_atomic_add_f32 v6, v107, s[8:9] offset:1800         // 0000000075D0: DD348708 00086B06
	s_mov_b64 exec, s[36:37]                                   // 0000000075D8: BEFE0124
	s_branch label_12FB                                        // 0000000075DC: BF820000

00000000000075e0 <label_12FB>:
	s_waitcnt vmcnt(0) expcnt(0) lgkmcnt(0)                    // 0000000075E0: BF8C0000
	s_endpgm                                                   // 0000000075E4: BF810000
